;; amdgpu-corpus repo=ROCm/rocFFT kind=compiled arch=gfx906 opt=O3
	.text
	.amdgcn_target "amdgcn-amd-amdhsa--gfx906"
	.amdhsa_code_object_version 6
	.protected	bluestein_single_back_len4050_dim1_dp_op_CI_CI ; -- Begin function bluestein_single_back_len4050_dim1_dp_op_CI_CI
	.globl	bluestein_single_back_len4050_dim1_dp_op_CI_CI
	.p2align	8
	.type	bluestein_single_back_len4050_dim1_dp_op_CI_CI,@function
bluestein_single_back_len4050_dim1_dp_op_CI_CI: ; @bluestein_single_back_len4050_dim1_dp_op_CI_CI
; %bb.0:
	s_load_dwordx4 s[16:19], s[4:5], 0x28
	s_mov_b64 s[42:43], s[2:3]
	v_mul_u32_u24_e32 v1, 0x1e6, v0
	s_mov_b64 s[40:41], s[0:1]
	v_add_u32_sdwa v2, s6, v1 dst_sel:DWORD dst_unused:UNUSED_PAD src0_sel:DWORD src1_sel:WORD_1
	v_mov_b32_e32 v3, 0
	s_add_u32 s40, s40, s7
	s_waitcnt lgkmcnt(0)
	v_cmp_gt_u64_e32 vcc, s[16:17], v[2:3]
	s_addc_u32 s41, s41, 0
	s_and_saveexec_b64 s[0:1], vcc
	s_cbranch_execz .LBB0_2
; %bb.1:
	s_load_dwordx4 s[8:11], s[4:5], 0x18
	s_load_dwordx4 s[12:15], s[4:5], 0x0
	v_mov_b32_e32 v4, v2
	s_movk_i32 s6, 0x87
	v_mul_lo_u16_sdwa v1, v1, s6 dst_sel:DWORD dst_unused:UNUSED_PAD src0_sel:WORD_1 src1_sel:DWORD
	s_waitcnt lgkmcnt(0)
	s_load_dwordx4 s[0:3], s[8:9], 0x0
	buffer_store_dword v4, off, s[40:43], 0 offset:32 ; 4-byte Folded Spill
	s_nop 0
	buffer_store_dword v5, off, s[40:43], 0 offset:36 ; 4-byte Folded Spill
	v_sub_u16_e32 v172, v0, v1
	v_lshlrev_b32_e32 v44, 4, v172
	s_movk_i32 s34, 0x1000
	s_waitcnt lgkmcnt(0)
	v_mad_u64_u32 v[0:1], s[8:9], s2, v2, 0
	v_mad_u64_u32 v[2:3], s[8:9], s0, v172, 0
	s_movk_i32 s35, 0x3000
	global_load_dwordx4 v[82:85], v44, s[12:13]
	s_movk_i32 s7, 0x4000
	s_movk_i32 s36, 0x2000
	;; [unrolled: 1-line block ×3, first 2 shown]
	v_mov_b32_e32 v59, 0xffff24a0
	s_mov_b32 s16, 0x134454ff
	s_mov_b32 s17, 0x3fee6f0e
	;; [unrolled: 1-line block ×13, first 2 shown]
	v_mad_u64_u32 v[4:5], s[2:3], s3, v4, v[1:2]
	v_mad_u64_u32 v[5:6], s[2:3], s1, v172, v[3:4]
	v_mov_b32_e32 v1, v4
	v_lshlrev_b64 v[0:1], 4, v[0:1]
	v_mov_b32_e32 v6, s19
	v_mov_b32_e32 v3, v5
	v_add_co_u32_e32 v4, vcc, s18, v0
	v_addc_co_u32_e32 v5, vcc, v6, v1, vcc
	v_lshlrev_b64 v[0:1], 4, v[2:3]
	v_mov_b32_e32 v2, s13
	v_add_co_u32_e32 v0, vcc, v4, v0
	v_addc_co_u32_e32 v1, vcc, v5, v1, vcc
	v_add_co_u32_e32 v45, vcc, s12, v44
	s_mul_i32 s2, s1, 0x1950
	s_mul_hi_u32 s3, s0, 0x1950
	v_addc_co_u32_e32 v46, vcc, 0, v2, vcc
	s_add_i32 s2, s3, s2
	s_mul_i32 s3, s0, 0x1950
	global_load_dwordx4 v[16:19], v[0:1], off
	v_add_co_u32_e32 v0, vcc, s3, v0
	v_mov_b32_e32 v2, s2
	v_addc_co_u32_e32 v1, vcc, v1, v2, vcc
	global_load_dwordx4 v[20:23], v[0:1], off
	v_add_co_u32_e32 v60, vcc, s34, v45
	v_addc_co_u32_e32 v61, vcc, 0, v46, vcc
	v_add_co_u32_e32 v0, vcc, s3, v0
	v_addc_co_u32_e32 v1, vcc, v1, v2, vcc
	;; [unrolled: 2-line block ×3, first 2 shown]
	global_load_dwordx4 v[24:27], v[0:1], off
	v_add_co_u32_e32 v0, vcc, s3, v0
	v_addc_co_u32_e32 v1, vcc, v1, v2, vcc
	global_load_dwordx4 v[28:31], v[0:1], off
	global_load_dwordx4 v[90:93], v[60:61], off offset:2384
	v_add_co_u32_e32 v70, vcc, s7, v45
	v_addc_co_u32_e32 v71, vcc, 0, v46, vcc
	v_add_co_u32_e32 v0, vcc, s3, v0
	v_addc_co_u32_e32 v1, vcc, v1, v2, vcc
	s_movk_i32 s7, 0x6000
	v_add_co_u32_e32 v62, vcc, s7, v45
	v_addc_co_u32_e32 v63, vcc, 0, v46, vcc
	global_load_dwordx4 v[124:127], v[62:63], off offset:1344
	global_load_dwordx4 v[32:35], v[0:1], off
	v_add_co_u32_e32 v0, vcc, s3, v0
	global_load_dwordx4 v[116:119], v[12:13], off offset:672
	v_addc_co_u32_e32 v1, vcc, v1, v2, vcc
	s_movk_i32 s7, 0x7000
	global_load_dwordx4 v[120:123], v[70:71], off offset:3056
	v_add_co_u32_e32 v72, vcc, s7, v45
	v_addc_co_u32_e32 v73, vcc, 0, v46, vcc
	global_load_dwordx4 v[128:131], v[72:73], off offset:3728
	global_load_dwordx4 v[36:39], v[0:1], off
	v_add_co_u32_e32 v0, vcc, s3, v0
	v_addc_co_u32_e32 v1, vcc, v1, v2, vcc
	s_mov_b32 s7, 0x9000
	v_add_co_u32_e32 v2, vcc, s7, v45
	v_addc_co_u32_e32 v3, vcc, 0, v46, vcc
	global_load_dwordx4 v[40:43], v[0:1], off
	global_load_dwordx4 v[132:135], v[2:3], off offset:2016
	v_add_co_u32_e32 v0, vcc, s3, v0
	v_mov_b32_e32 v2, s2
	v_addc_co_u32_e32 v1, vcc, v1, v2, vcc
	global_load_dwordx4 v[47:50], v[0:1], off
	s_mov_b32 s7, 0xb000
	v_add_co_u32_e32 v64, vcc, s7, v45
	v_addc_co_u32_e32 v65, vcc, 0, v46, vcc
	v_add_co_u32_e32 v0, vcc, s3, v0
	v_addc_co_u32_e32 v1, vcc, v1, v2, vcc
	s_mov_b32 s7, 0xc000
	v_add_co_u32_e32 v68, vcc, s7, v45
	v_addc_co_u32_e32 v69, vcc, 0, v46, vcc
	global_load_dwordx4 v[51:54], v[0:1], off
	v_add_co_u32_e32 v0, vcc, s3, v0
	v_addc_co_u32_e32 v1, vcc, v1, v2, vcc
	global_load_dwordx4 v[55:58], v[0:1], off
	v_mov_b32_e32 v2, 0xffff24a0
	v_mad_u64_u32 v[4:5], s[8:9], s0, v2, v[0:1]
	s_mov_b32 s7, 0xe000
	s_mul_i32 s1, s1, 0xffff24a0
	v_add_co_u32_e32 v66, vcc, s7, v45
	s_sub_i32 s1, s1, s0
	v_addc_co_u32_e32 v67, vcc, 0, v46, vcc
	v_add_u32_e32 v5, s1, v5
	global_load_dwordx4 v[136:139], v[64:65], off offset:304
	global_load_dwordx4 v[104:107], v[66:67], off offset:976
	;; [unrolled: 1-line block ×3, first 2 shown]
	global_load_dwordx4 v[0:3], v[4:5], off
	global_load_dwordx4 v[100:103], v44, s[12:13] offset:2160
	v_add_co_u32_e32 v8, vcc, s3, v4
	v_mov_b32_e32 v4, s2
	v_addc_co_u32_e32 v9, vcc, v5, v4, vcc
	v_add_co_u32_e32 v94, vcc, s36, v45
	v_addc_co_u32_e32 v95, vcc, 0, v46, vcc
	global_load_dwordx4 v[4:7], v[8:9], off
	v_add_co_u32_e32 v14, vcc, s3, v8
	v_mov_b32_e32 v8, s2
	v_addc_co_u32_e32 v15, vcc, v9, v8, vcc
	global_load_dwordx4 v[108:111], v[94:95], off offset:448
	global_load_dwordx4 v[8:11], v[14:15], off
	global_load_dwordx4 v[112:115], v[12:13], off offset:2832
	v_add_co_u32_e32 v88, vcc, s3, v14
	v_mov_b32_e32 v12, s2
	v_addc_co_u32_e32 v89, vcc, v15, v12, vcc
	v_add_co_u32_e32 v98, vcc, s33, v45
	v_addc_co_u32_e32 v99, vcc, 0, v46, vcc
	global_load_dwordx4 v[12:15], v[88:89], off
	global_load_dwordx4 v[162:165], v[98:99], off offset:1120
	s_waitcnt vmcnt(27)
	buffer_store_dword v82, off, s[40:43], 0 offset:312 ; 4-byte Folded Spill
	s_nop 0
	buffer_store_dword v83, off, s[40:43], 0 offset:316 ; 4-byte Folded Spill
	buffer_store_dword v84, off, s[40:43], 0 offset:320 ; 4-byte Folded Spill
	buffer_store_dword v85, off, s[40:43], 0 offset:324 ; 4-byte Folded Spill
	s_waitcnt vmcnt(26)
	buffer_store_dword v90, off, s[40:43], 0 offset:296 ; 4-byte Folded Spill
	s_nop 0
	buffer_store_dword v91, off, s[40:43], 0 offset:300 ; 4-byte Folded Spill
	buffer_store_dword v92, off, s[40:43], 0 offset:304 ; 4-byte Folded Spill
	buffer_store_dword v93, off, s[40:43], 0 offset:308 ; 4-byte Folded Spill
	;; [unrolled: 6-line block ×4, first 2 shown]
	buffer_store_dword v124, off, s[40:43], 0 offset:216 ; 4-byte Folded Spill
	s_nop 0
	buffer_store_dword v125, off, s[40:43], 0 offset:220 ; 4-byte Folded Spill
	buffer_store_dword v126, off, s[40:43], 0 offset:224 ; 4-byte Folded Spill
	;; [unrolled: 1-line block ×3, first 2 shown]
	s_waitcnt vmcnt(37)
	buffer_store_dword v128, off, s[40:43], 0 offset:200 ; 4-byte Folded Spill
	s_nop 0
	buffer_store_dword v129, off, s[40:43], 0 offset:204 ; 4-byte Folded Spill
	buffer_store_dword v130, off, s[40:43], 0 offset:208 ; 4-byte Folded Spill
	;; [unrolled: 1-line block ×3, first 2 shown]
	s_load_dwordx4 s[8:11], s[10:11], 0x0
	s_mov_b32 s7, 0x8000
	s_mov_b32 s18, 0x4755a5e
	;; [unrolled: 1-line block ×4, first 2 shown]
	s_waitcnt vmcnt(30)
	v_mov_b32_e32 v196, v103
	v_mov_b32_e32 v195, v102
	v_mov_b32_e32 v194, v101
	v_mov_b32_e32 v193, v100
	s_waitcnt vmcnt(28)
	v_mov_b32_e32 v200, v111
	v_mov_b32_e32 v199, v110
	v_mov_b32_e32 v198, v109
	v_mov_b32_e32 v197, v108
	;; [unrolled: 5-line block ×3, first 2 shown]
	v_mul_f64 v[74:75], v[18:19], v[84:85]
	v_mul_f64 v[76:77], v[16:17], v[84:85]
	;; [unrolled: 1-line block ×6, first 2 shown]
	v_fma_f64 v[16:17], v[16:17], v[82:83], v[74:75]
	v_fma_f64 v[18:19], v[18:19], v[82:83], -v[76:77]
	v_mul_f64 v[74:75], v[26:27], v[118:119]
	v_mul_f64 v[76:77], v[24:25], v[118:119]
	v_fma_f64 v[20:21], v[20:21], v[90:91], v[78:79]
	v_fma_f64 v[22:23], v[22:23], v[90:91], -v[80:81]
	v_mul_f64 v[78:79], v[30:31], v[122:123]
	v_mul_f64 v[80:81], v[28:29], v[122:123]
	;; [unrolled: 1-line block ×4, first 2 shown]
	v_fma_f64 v[24:25], v[24:25], v[116:117], v[74:75]
	v_fma_f64 v[26:27], v[26:27], v[116:117], -v[76:77]
	v_fma_f64 v[34:35], v[34:35], v[124:125], -v[84:85]
	v_fma_f64 v[36:37], v[36:37], v[128:129], v[86:87]
	v_fma_f64 v[28:29], v[28:29], v[120:121], v[78:79]
	v_fma_f64 v[30:31], v[30:31], v[120:121], -v[80:81]
	v_fma_f64 v[32:33], v[32:33], v[124:125], v[82:83]
	v_fma_f64 v[38:39], v[38:39], v[128:129], -v[90:91]
	ds_write_b128 v44, v[16:19]
	ds_write_b128 v44, v[20:23] offset:6480
	ds_write_b128 v44, v[24:27] offset:12960
	;; [unrolled: 1-line block ×5, first 2 shown]
	buffer_store_dword v132, off, s[40:43], 0 offset:184 ; 4-byte Folded Spill
	s_nop 0
	buffer_store_dword v133, off, s[40:43], 0 offset:188 ; 4-byte Folded Spill
	buffer_store_dword v134, off, s[40:43], 0 offset:192 ; 4-byte Folded Spill
	buffer_store_dword v135, off, s[40:43], 0 offset:196 ; 4-byte Folded Spill
	buffer_store_dword v136, off, s[40:43], 0 offset:168 ; 4-byte Folded Spill
	s_nop 0
	buffer_store_dword v137, off, s[40:43], 0 offset:172 ; 4-byte Folded Spill
	buffer_store_dword v138, off, s[40:43], 0 offset:176 ; 4-byte Folded Spill
	buffer_store_dword v139, off, s[40:43], 0 offset:180 ; 4-byte Folded Spill
	buffer_store_dword v140, off, s[40:43], 0 offset:152 ; 4-byte Folded Spill
	s_nop 0
	buffer_store_dword v141, off, s[40:43], 0 offset:156 ; 4-byte Folded Spill
	buffer_store_dword v142, off, s[40:43], 0 offset:160 ; 4-byte Folded Spill
	buffer_store_dword v143, off, s[40:43], 0 offset:164 ; 4-byte Folded Spill
	buffer_store_dword v104, off, s[40:43], 0 offset:120 ; 4-byte Folded Spill
	s_nop 0
	buffer_store_dword v105, off, s[40:43], 0 offset:124 ; 4-byte Folded Spill
	buffer_store_dword v106, off, s[40:43], 0 offset:128 ; 4-byte Folded Spill
	buffer_store_dword v107, off, s[40:43], 0 offset:132 ; 4-byte Folded Spill
	v_add_co_u32_e32 v36, vcc, s3, v88
	v_mov_b32_e32 v32, s2
	v_addc_co_u32_e32 v37, vcc, v89, v32, vcc
	global_load_dwordx4 v[32:35], v[36:37], off
	global_load_dwordx4 v[185:188], v[62:63], off offset:3504
	v_mul_f64 v[74:75], v[2:3], v[102:103]
	v_mul_f64 v[76:77], v[0:1], v[102:103]
	;; [unrolled: 1-line block ×6, first 2 shown]
	s_waitcnt vmcnt(42)
	v_mul_f64 v[86:87], v[14:15], v[164:165]
	v_mul_f64 v[16:17], v[42:43], v[134:135]
	;; [unrolled: 1-line block ×9, first 2 shown]
	v_fma_f64 v[16:17], v[40:41], v[132:133], v[16:17]
	v_add_co_u32_e32 v40, vcc, s3, v36
	v_mov_b32_e32 v36, s2
	v_addc_co_u32_e32 v41, vcc, v37, v36, vcc
	v_add_co_u32_e32 v102, vcc, s7, v45
	v_addc_co_u32_e32 v103, vcc, 0, v46, vcc
	v_fma_f64 v[20:21], v[47:48], v[136:137], v[20:21]
	global_load_dwordx4 v[36:39], v[40:41], off
	v_add_co_u32_e32 v47, vcc, s3, v40
	v_mov_b32_e32 v40, s2
	v_addc_co_u32_e32 v48, vcc, v41, v40, vcc
	s_mov_b32 s7, 0xa000
	v_add_co_u32_e32 v106, vcc, s7, v45
	v_addc_co_u32_e32 v107, vcc, 0, v46, vcc
	v_fma_f64 v[18:19], v[42:43], v[132:133], -v[18:19]
	v_fma_f64 v[22:23], v[49:50], v[136:137], -v[22:23]
	global_load_dwordx4 v[40:43], v[47:48], off
	v_add_co_u32_e32 v47, vcc, s3, v47
	v_mov_b32_e32 v49, s2
	v_addc_co_u32_e32 v48, vcc, v48, v49, vcc
	v_fma_f64 v[24:25], v[51:52], v[140:141], v[24:25]
	global_load_dwordx4 v[181:184], v[102:103], off offset:1792
	global_load_dwordx4 v[173:176], v[106:107], off offset:80
	global_load_dwordx4 v[90:93], v[47:48], off
	global_load_dwordx4 v[166:169], v[64:65], off offset:2464
	v_add_co_u32_e32 v52, vcc, s3, v47
	v_mov_b32_e32 v47, s2
	v_fma_f64 v[26:27], v[53:54], v[140:141], -v[26:27]
	v_addc_co_u32_e32 v53, vcc, v48, v47, vcc
	s_mov_b32 s7, 0xd000
	v_add_co_u32_e32 v88, vcc, s7, v45
	v_addc_co_u32_e32 v89, vcc, 0, v46, vcc
	global_load_dwordx4 v[48:51], v[52:53], off
	v_add_co_u32_e32 v52, vcc, s3, v52
	v_addc_co_u32_e32 v53, vcc, v53, v47, vcc
	v_mad_u64_u32 v[62:63], s[12:13], s0, v59, v[52:53]
	v_fma_f64 v[28:29], v[55:56], v[104:105], v[28:29]
	v_fma_f64 v[30:31], v[57:58], v[104:105], -v[30:31]
	v_add_u32_e32 v63, s1, v63
	global_load_dwordx4 v[177:180], v[88:89], off offset:752
	s_nop 0
	global_load_dwordx4 v[52:55], v[52:53], off
	s_nop 0
	global_load_dwordx4 v[118:121], v[66:67], off offset:3136
	global_load_dwordx4 v[56:59], v[62:63], off
	global_load_dwordx4 v[158:161], v[60:61], off offset:224
	v_add_co_u32_e32 v60, vcc, s3, v62
	v_addc_co_u32_e32 v61, vcc, v63, v47, vcc
	global_load_dwordx4 v[64:67], v[60:61], off
	global_load_dwordx4 v[142:145], v[94:95], off offset:2608
	v_add_co_u32_e32 v94, vcc, s3, v60
	v_addc_co_u32_e32 v95, vcc, v61, v47, vcc
	;; [unrolled: 4-line block ×4, first 2 shown]
	v_add_co_u32_e32 v104, vcc, s3, v70
	v_addc_co_u32_e32 v105, vcc, v71, v47, vcc
	v_add_co_u32_e32 v108, vcc, s3, v104
	v_addc_co_u32_e32 v109, vcc, v105, v47, vcc
	;; [unrolled: 2-line block ×3, first 2 shown]
	global_load_dwordx4 v[98:101], v[70:71], off
	global_load_dwordx4 v[146:149], v[72:73], off offset:1568
	s_nop 0
	global_load_dwordx4 v[70:73], v[104:105], off
	global_load_dwordx4 v[134:137], v[102:103], off offset:3952
	s_nop 0
	;; [unrolled: 3-line block ×3, first 2 shown]
	global_load_dwordx4 v[106:109], v[110:111], off
	global_load_dwordx4 v[150:153], v[68:69], off offset:528
	v_add_co_u32_e32 v68, vcc, s3, v110
	v_addc_co_u32_e32 v69, vcc, v111, v47, vcc
	global_load_dwordx4 v[110:113], v[68:69], off
	global_load_dwordx4 v[130:133], v[88:89], off offset:2912
	v_add_co_u32_e32 v68, vcc, s3, v68
	v_addc_co_u32_e32 v69, vcc, v69, v47, vcc
	s_mov_b32 s0, 0xf000
	v_add_co_u32_e32 v88, vcc, s0, v45
	v_addc_co_u32_e32 v89, vcc, 0, v46, vcc
	global_load_dwordx4 v[114:117], v[68:69], off
	global_load_dwordx4 v[122:125], v[88:89], off offset:1200
	s_nop 0
	buffer_store_dword v162, off, s[40:43], 0 offset:424 ; 4-byte Folded Spill
	s_nop 0
	buffer_store_dword v163, off, s[40:43], 0 offset:428 ; 4-byte Folded Spill
	buffer_store_dword v164, off, s[40:43], 0 offset:432 ; 4-byte Folded Spill
	buffer_store_dword v165, off, s[40:43], 0 offset:436 ; 4-byte Folded Spill
	buffer_store_dword v193, off, s[40:43], 0 offset:472 ; 4-byte Folded Spill
	s_nop 0
	buffer_store_dword v194, off, s[40:43], 0 offset:476 ; 4-byte Folded Spill
	buffer_store_dword v195, off, s[40:43], 0 offset:480 ; 4-byte Folded Spill
	buffer_store_dword v196, off, s[40:43], 0 offset:484 ; 4-byte Folded Spill
	;; [unrolled: 5-line block ×4, first 2 shown]
	s_movk_i32 s2, 0x10e
	s_mov_b32 s12, 0xe8584caa
	s_mov_b32 s13, 0x3febb67a
	;; [unrolled: 1-line block ×3, first 2 shown]
	v_mul_f64 v[68:69], v[12:13], v[164:165]
	v_fma_f64 v[0:1], v[0:1], v[193:194], v[74:75]
	v_fma_f64 v[2:3], v[2:3], v[193:194], -v[76:77]
	v_fma_f64 v[4:5], v[4:5], v[197:198], v[78:79]
	v_fma_f64 v[6:7], v[6:7], v[197:198], -v[80:81]
	;; [unrolled: 2-line block ×4, first 2 shown]
	ds_write_b128 v44, v[16:19] offset:38880
	ds_write_b128 v44, v[20:23] offset:45360
	;; [unrolled: 1-line block ×8, first 2 shown]
	s_waitcnt vmcnt(46)
	buffer_store_dword v185, off, s[40:43], 0 offset:408 ; 4-byte Folded Spill
	s_nop 0
	buffer_store_dword v186, off, s[40:43], 0 offset:412 ; 4-byte Folded Spill
	buffer_store_dword v187, off, s[40:43], 0 offset:416 ; 4-byte Folded Spill
	buffer_store_dword v188, off, s[40:43], 0 offset:420 ; 4-byte Folded Spill
	s_waitcnt vmcnt(47)
	buffer_store_dword v181, off, s[40:43], 0 offset:392 ; 4-byte Folded Spill
	s_nop 0
	buffer_store_dword v182, off, s[40:43], 0 offset:396 ; 4-byte Folded Spill
	buffer_store_dword v183, off, s[40:43], 0 offset:400 ; 4-byte Folded Spill
	buffer_store_dword v184, off, s[40:43], 0 offset:404 ; 4-byte Folded Spill
	;; [unrolled: 6-line block ×8, first 2 shown]
	v_mul_f64 v[0:1], v[34:35], v[187:188]
	v_mul_f64 v[2:3], v[32:33], v[187:188]
	;; [unrolled: 1-line block ×16, first 2 shown]
	v_fma_f64 v[0:1], v[32:33], v[185:186], v[0:1]
	v_fma_f64 v[2:3], v[34:35], v[185:186], -v[2:3]
	v_fma_f64 v[4:5], v[36:37], v[181:182], v[4:5]
	v_fma_f64 v[6:7], v[38:39], v[181:182], -v[6:7]
	;; [unrolled: 2-line block ×8, first 2 shown]
	ds_write_b128 v44, v[0:3] offset:28080
	ds_write_b128 v44, v[4:7] offset:34560
	;; [unrolled: 1-line block ×8, first 2 shown]
	s_waitcnt vmcnt(62)
	buffer_store_dword v154, off, s[40:43], 0 offset:136 ; 4-byte Folded Spill
	s_nop 0
	buffer_store_dword v155, off, s[40:43], 0 offset:140 ; 4-byte Folded Spill
	buffer_store_dword v156, off, s[40:43], 0 offset:144 ; 4-byte Folded Spill
	;; [unrolled: 1-line block ×3, first 2 shown]
	s_waitcnt vmcnt(62)
	buffer_store_dword v138, off, s[40:43], 0 offset:104 ; 4-byte Folded Spill
	s_nop 0
	buffer_store_dword v139, off, s[40:43], 0 offset:108 ; 4-byte Folded Spill
	buffer_store_dword v140, off, s[40:43], 0 offset:112 ; 4-byte Folded Spill
	;; [unrolled: 1-line block ×4, first 2 shown]
	s_nop 0
	buffer_store_dword v147, off, s[40:43], 0 offset:92 ; 4-byte Folded Spill
	buffer_store_dword v148, off, s[40:43], 0 offset:96 ; 4-byte Folded Spill
	;; [unrolled: 1-line block ×3, first 2 shown]
	s_waitcnt vmcnt(62)
	buffer_store_dword v134, off, s[40:43], 0 offset:56 ; 4-byte Folded Spill
	s_nop 0
	buffer_store_dword v135, off, s[40:43], 0 offset:60 ; 4-byte Folded Spill
	buffer_store_dword v136, off, s[40:43], 0 offset:64 ; 4-byte Folded Spill
	;; [unrolled: 1-line block ×3, first 2 shown]
	s_waitcnt vmcnt(62)
	buffer_store_dword v122, off, s[40:43], 0 ; 4-byte Folded Spill
	s_nop 0
	buffer_store_dword v123, off, s[40:43], 0 offset:4 ; 4-byte Folded Spill
	buffer_store_dword v124, off, s[40:43], 0 offset:8 ; 4-byte Folded Spill
	buffer_store_dword v125, off, s[40:43], 0 offset:12 ; 4-byte Folded Spill
	v_mul_f64 v[16:17], v[104:105], v[128:129]
	v_mul_f64 v[18:19], v[102:103], v[128:129]
	buffer_store_dword v126, off, s[40:43], 0 offset:72 ; 4-byte Folded Spill
	s_nop 0
	buffer_store_dword v127, off, s[40:43], 0 offset:76 ; 4-byte Folded Spill
	buffer_store_dword v128, off, s[40:43], 0 offset:80 ; 4-byte Folded Spill
	buffer_store_dword v129, off, s[40:43], 0 offset:84 ; 4-byte Folded Spill
	v_mul_f64 v[20:21], v[108:109], v[152:153]
	v_mul_f64 v[22:23], v[106:107], v[152:153]
	buffer_store_dword v150, off, s[40:43], 0 offset:40 ; 4-byte Folded Spill
	;; [unrolled: 7-line block ×3, first 2 shown]
	s_nop 0
	buffer_store_dword v131, off, s[40:43], 0 offset:20 ; 4-byte Folded Spill
	buffer_store_dword v132, off, s[40:43], 0 offset:24 ; 4-byte Folded Spill
	;; [unrolled: 1-line block ×3, first 2 shown]
	v_mul_f64 v[0:1], v[62:63], v[156:157]
	v_mul_f64 v[2:3], v[60:61], v[156:157]
	;; [unrolled: 1-line block ×10, first 2 shown]
	v_fma_f64 v[0:1], v[60:61], v[154:155], v[0:1]
	v_fma_f64 v[2:3], v[62:63], v[154:155], -v[2:3]
	v_fma_f64 v[4:5], v[94:95], v[138:139], v[4:5]
	v_fma_f64 v[6:7], v[96:97], v[138:139], -v[6:7]
	;; [unrolled: 2-line block ×8, first 2 shown]
	ds_write_b128 v44, v[0:3] offset:17280
	ds_write_b128 v44, v[4:7] offset:23760
	ds_write_b128 v44, v[8:11] offset:30240
	ds_write_b128 v44, v[12:15] offset:36720
	ds_write_b128 v44, v[16:19] offset:43200
	ds_write_b128 v44, v[20:23] offset:49680
	ds_write_b128 v44, v[24:27] offset:56160
	ds_write_b128 v44, v[28:31] offset:62640
	s_waitcnt vmcnt(0) lgkmcnt(0)
	s_barrier
	ds_read_b128 v[90:93], v44
	ds_read_b128 v[24:27], v44 offset:6480
	ds_read_b128 v[32:35], v44 offset:12960
	;; [unrolled: 1-line block ×10, first 2 shown]
	s_waitcnt lgkmcnt(4)
	v_add_f64 v[0:1], v[36:37], v[40:41]
	v_add_f64 v[2:3], v[90:91], v[32:33]
	s_waitcnt lgkmcnt(2)
	v_add_f64 v[96:97], v[34:35], -v[30:31]
	v_add_f64 v[106:107], v[32:33], v[28:29]
	v_add_f64 v[102:103], v[38:39], -v[42:43]
	v_add_f64 v[104:105], v[32:33], -v[36:37]
	;; [unrolled: 1-line block ×4, first 2 shown]
	v_fma_f64 v[94:95], v[0:1], -0.5, v[90:91]
	v_add_f64 v[98:99], v[2:3], v[36:37]
	v_add_f64 v[112:113], v[40:41], -v[28:29]
	v_fma_f64 v[90:91], v[106:107], -0.5, v[90:91]
	v_add_f64 v[106:107], v[38:39], v[42:43]
	v_add_f64 v[32:33], v[32:33], -v[28:29]
	v_add_f64 v[104:105], v[104:105], v[108:109]
	v_add_f64 v[36:37], v[36:37], -v[40:41]
	v_fma_f64 v[100:101], v[96:97], s[16:17], v[94:95]
	v_fma_f64 v[94:95], v[96:97], s[22:23], v[94:95]
	v_add_f64 v[98:99], v[98:99], v[40:41]
	v_fma_f64 v[108:109], v[102:103], s[22:23], v[90:91]
	v_fma_f64 v[90:91], v[102:103], s[16:17], v[90:91]
	v_fma_f64 v[106:107], v[106:107], -0.5, v[92:93]
	v_add_f64 v[40:41], v[34:35], -v[38:39]
	v_add_f64 v[116:117], v[16:17], -v[8:9]
	v_fma_f64 v[100:101], v[102:103], s[18:19], v[100:101]
	v_fma_f64 v[94:95], v[102:103], s[24:25], v[94:95]
	v_add_f64 v[102:103], v[92:93], v[34:35]
	v_add_f64 v[28:29], v[98:99], v[28:29]
	v_fma_f64 v[90:91], v[96:97], s[24:25], v[90:91]
	ds_read_b128 v[68:71], v44 offset:8640
	ds_read_b128 v[72:75], v44 offset:15120
	;; [unrolled: 1-line block ×8, first 2 shown]
	v_fma_f64 v[100:101], v[104:105], s[20:21], v[100:101]
	v_fma_f64 v[94:95], v[104:105], s[20:21], v[94:95]
	;; [unrolled: 1-line block ×3, first 2 shown]
	v_add_f64 v[108:109], v[110:111], v[112:113]
	v_add_f64 v[110:111], v[34:35], v[30:31]
	;; [unrolled: 1-line block ×3, first 2 shown]
	v_fma_f64 v[102:103], v[32:33], s[22:23], v[106:107]
	v_add_f64 v[112:113], v[30:31], -v[42:43]
	v_fma_f64 v[106:107], v[32:33], s[16:17], v[106:107]
	v_add_f64 v[34:35], v[38:39], -v[34:35]
	v_add_f64 v[38:39], v[24:25], v[12:13]
	v_fma_f64 v[98:99], v[108:109], s[20:21], v[104:105]
	v_fma_f64 v[92:93], v[110:111], -0.5, v[92:93]
	v_fma_f64 v[104:105], v[108:109], s[20:21], v[90:91]
	v_add_f64 v[90:91], v[96:97], v[42:43]
	v_fma_f64 v[96:97], v[36:37], s[24:25], v[102:103]
	v_add_f64 v[102:103], v[16:17], v[8:9]
	v_add_f64 v[42:43], v[42:43], -v[30:31]
	s_waitcnt lgkmcnt(9)
	v_add_f64 v[110:111], v[14:15], -v[6:7]
	v_add_f64 v[40:41], v[40:41], v[112:113]
	v_fma_f64 v[108:109], v[36:37], s[16:17], v[92:93]
	v_fma_f64 v[92:93], v[36:37], s[22:23], v[92:93]
	v_add_f64 v[30:31], v[90:91], v[30:31]
	v_fma_f64 v[36:37], v[36:37], s[18:19], v[106:107]
	v_fma_f64 v[102:103], v[102:103], -0.5, v[24:25]
	v_add_f64 v[34:35], v[34:35], v[42:43]
	v_add_f64 v[38:39], v[38:39], v[16:17]
	v_add_f64 v[106:107], v[12:13], -v[16:17]
	v_fma_f64 v[90:91], v[32:33], s[24:25], v[108:109]
	v_fma_f64 v[32:33], v[32:33], s[18:19], v[92:93]
	v_add_f64 v[92:93], v[18:19], -v[10:11]
	v_add_f64 v[108:109], v[4:5], -v[8:9]
	v_fma_f64 v[42:43], v[110:111], s[16:17], v[102:103]
	v_fma_f64 v[112:113], v[40:41], s[20:21], v[36:37]
	;; [unrolled: 1-line block ×6, first 2 shown]
	v_add_f64 v[32:33], v[18:19], v[10:11]
	v_add_f64 v[90:91], v[12:13], v[4:5]
	v_fma_f64 v[34:35], v[92:93], s[18:19], v[42:43]
	v_add_f64 v[42:43], v[14:15], v[6:7]
	v_add_f64 v[38:39], v[38:39], v[8:9]
	;; [unrolled: 1-line block ×3, first 2 shown]
	v_fma_f64 v[36:37], v[92:93], s[24:25], v[36:37]
	v_add_f64 v[106:107], v[26:27], v[14:15]
	v_fma_f64 v[32:33], v[32:33], -0.5, v[26:27]
	v_add_f64 v[108:109], v[12:13], -v[4:5]
	v_fma_f64 v[24:25], v[90:91], -0.5, v[24:25]
	v_fma_f64 v[26:27], v[42:43], -0.5, v[26:27]
	v_add_f64 v[38:39], v[38:39], v[4:5]
	v_fma_f64 v[34:35], v[40:41], s[20:21], v[34:35]
	v_fma_f64 v[36:37], v[40:41], s[20:21], v[36:37]
	v_add_f64 v[12:13], v[16:17], -v[12:13]
	v_add_f64 v[16:17], v[106:107], v[18:19]
	v_fma_f64 v[40:41], v[108:109], s[22:23], v[32:33]
	v_add_f64 v[42:43], v[14:15], -v[18:19]
	v_add_f64 v[90:91], v[6:7], -v[10:11]
	v_fma_f64 v[106:107], v[116:117], s[16:17], v[26:27]
	v_add_f64 v[14:15], v[18:19], -v[14:15]
	v_add_f64 v[18:19], v[10:11], -v[6:7]
	v_fma_f64 v[118:119], v[92:93], s[22:23], v[24:25]
	v_add_f64 v[4:5], v[8:9], -v[4:5]
	v_fma_f64 v[8:9], v[92:93], s[16:17], v[24:25]
	v_fma_f64 v[24:25], v[116:117], s[24:25], v[40:41]
	v_add_f64 v[40:41], v[42:43], v[90:91]
	v_fma_f64 v[32:33], v[108:109], s[16:17], v[32:33]
	v_fma_f64 v[42:43], v[108:109], s[24:25], v[106:107]
	v_add_f64 v[14:15], v[14:15], v[18:19]
	v_fma_f64 v[18:19], v[116:117], s[22:23], v[26:27]
	v_fma_f64 v[26:27], v[110:111], s[18:19], v[118:119]
	v_add_f64 v[4:5], v[12:13], v[4:5]
	v_fma_f64 v[8:9], v[110:111], s[24:25], v[8:9]
	v_add_f64 v[10:11], v[16:17], v[10:11]
	v_fma_f64 v[16:17], v[40:41], s[20:21], v[24:25]
	v_fma_f64 v[12:13], v[116:117], s[18:19], v[32:33]
	v_fma_f64 v[24:25], v[14:15], s[20:21], v[42:43]
	v_fma_f64 v[18:19], v[108:109], s[18:19], v[18:19]
	v_mul_f64 v[32:33], v[34:35], s[30:31]
	v_fma_f64 v[26:27], v[4:5], s[20:21], v[26:27]
	v_fma_f64 v[42:43], v[4:5], s[20:21], v[8:9]
	v_add_f64 v[92:93], v[10:11], v[6:7]
	s_waitcnt lgkmcnt(2)
	v_add_f64 v[122:123], v[80:81], v[76:77]
	v_fma_f64 v[6:7], v[40:41], s[20:21], v[12:13]
	v_mul_f64 v[10:11], v[24:25], s[16:17]
	v_fma_f64 v[8:9], v[14:15], s[20:21], v[18:19]
	v_mul_f64 v[14:15], v[36:37], s[26:27]
	v_mul_f64 v[18:19], v[26:27], s[22:23]
	v_fma_f64 v[40:41], v[16:17], s[18:19], v[32:33]
	v_mul_f64 v[12:13], v[42:43], s[28:29]
	v_add_f64 v[4:5], v[28:29], v[38:39]
	v_mul_f64 v[32:33], v[6:7], s[26:27]
	v_fma_f64 v[106:107], v[26:27], s[20:21], v[10:11]
	v_mul_f64 v[10:11], v[34:35], s[24:25]
	v_mul_f64 v[26:27], v[8:9], s[28:29]
	v_fma_f64 v[110:111], v[6:7], s[18:19], v[14:15]
	v_fma_f64 v[118:119], v[24:25], s[20:21], v[18:19]
	v_add_f64 v[24:25], v[48:49], v[72:73]
	v_fma_f64 v[108:109], v[8:9], s[16:17], v[12:13]
	v_fma_f64 v[120:121], v[36:37], s[24:25], v[32:33]
	v_add_f64 v[12:13], v[100:101], v[40:41]
	;; [unrolled: 3-line block ×3, first 2 shown]
	v_add_f64 v[6:7], v[30:31], v[92:93]
	v_add_f64 v[42:43], v[24:25], v[80:81]
	v_add_f64 v[24:25], v[94:95], -v[110:111]
	s_waitcnt lgkmcnt(0)
	v_add_f64 v[94:95], v[72:73], v[84:85]
	v_add_f64 v[16:17], v[104:105], v[108:109]
	;; [unrolled: 1-line block ×3, first 2 shown]
	v_add_f64 v[36:37], v[28:29], -v[38:39]
	v_add_f64 v[90:91], v[100:101], -v[40:41]
	;; [unrolled: 1-line block ×4, first 2 shown]
	v_fma_f64 v[100:101], v[122:123], -0.5, v[48:49]
	v_add_f64 v[104:105], v[74:75], -v[86:87]
	v_add_f64 v[92:93], v[96:97], -v[116:117]
	;; [unrolled: 1-line block ×3, first 2 shown]
	v_fma_f64 v[47:48], v[94:95], -0.5, v[48:49]
	v_add_f64 v[8:9], v[98:99], v[106:107]
	v_add_f64 v[40:41], v[98:99], -v[106:107]
	v_add_f64 v[98:99], v[42:43], v[76:77]
	v_add_f64 v[106:107], v[50:51], v[74:75]
	v_fma_f64 v[94:95], v[104:105], s[16:17], v[100:101]
	v_fma_f64 v[100:101], v[104:105], s[22:23], v[100:101]
	v_add_f64 v[10:11], v[102:103], v[118:119]
	v_fma_f64 v[110:111], v[96:97], s[22:23], v[47:48]
	v_add_f64 v[18:19], v[114:115], v[26:27]
	v_add_f64 v[34:35], v[112:113], v[120:121]
	v_add_f64 v[42:43], v[102:103], -v[118:119]
	v_add_f64 v[30:31], v[114:115], -v[26:27]
	;; [unrolled: 1-line block ×3, first 2 shown]
	v_add_f64 v[102:103], v[98:99], v[84:85]
	v_add_f64 v[98:99], v[72:73], -v[80:81]
	v_add_f64 v[108:109], v[84:85], -v[76:77]
	;; [unrolled: 1-line block ×4, first 2 shown]
	v_fma_f64 v[94:95], v[96:97], s[18:19], v[94:95]
	v_fma_f64 v[47:48], v[96:97], s[16:17], v[47:48]
	v_add_f64 v[106:107], v[106:107], v[82:83]
	v_add_f64 v[116:117], v[82:83], v[78:79]
	v_fma_f64 v[96:97], v[96:97], s[24:25], v[100:101]
	v_fma_f64 v[100:101], v[104:105], s[18:19], v[110:111]
	v_add_f64 v[110:111], v[74:75], v[86:87]
	v_add_f64 v[98:99], v[98:99], v[108:109]
	;; [unrolled: 1-line block ×3, first 2 shown]
	v_fma_f64 v[47:48], v[104:105], s[24:25], v[47:48]
	v_add_f64 v[104:105], v[106:107], v[78:79]
	v_fma_f64 v[106:107], v[116:117], -0.5, v[50:51]
	v_add_f64 v[72:73], v[72:73], -v[84:85]
	v_add_f64 v[76:77], v[80:81], -v[76:77]
	v_fma_f64 v[49:50], v[110:111], -0.5, v[50:51]
	v_fma_f64 v[84:85], v[98:99], s[20:21], v[94:95]
	v_fma_f64 v[112:113], v[98:99], s[20:21], v[96:97]
	v_fma_f64 v[80:81], v[108:109], s[20:21], v[100:101]
	v_fma_f64 v[108:109], v[108:109], s[20:21], v[47:48]
	v_add_f64 v[94:95], v[74:75], -v[82:83]
	v_fma_f64 v[47:48], v[72:73], s[22:23], v[106:107]
	v_add_f64 v[96:97], v[86:87], -v[78:79]
	v_fma_f64 v[98:99], v[72:73], s[16:17], v[106:107]
	v_fma_f64 v[100:101], v[76:77], s[16:17], v[49:50]
	v_add_f64 v[74:75], v[82:83], -v[74:75]
	v_add_f64 v[78:79], v[78:79], -v[86:87]
	v_fma_f64 v[49:50], v[76:77], s[22:23], v[49:50]
	v_add_f64 v[104:105], v[104:105], v[86:87]
	v_add_f64 v[82:83], v[60:61], v[56:57]
	v_fma_f64 v[47:48], v[76:77], s[24:25], v[47:48]
	v_add_f64 v[86:87], v[94:95], v[96:97]
	v_fma_f64 v[76:77], v[76:77], s[18:19], v[98:99]
	v_fma_f64 v[94:95], v[72:73], s[24:25], v[100:101]
	v_add_f64 v[74:75], v[74:75], v[78:79]
	v_fma_f64 v[49:50], v[72:73], s[18:19], v[49:50]
	ds_read_b128 v[52:55], v44 offset:60480
	ds_read_b128 v[0:3], v44 offset:4320
	v_fma_f64 v[72:73], v[82:83], -0.5, v[68:69]
	v_add_f64 v[114:115], v[62:63], v[58:59]
	v_fma_f64 v[82:83], v[86:87], s[20:21], v[47:48]
	s_waitcnt lgkmcnt(1)
	v_add_f64 v[96:97], v[64:65], v[52:53]
	v_add_f64 v[78:79], v[66:67], -v[54:55]
	v_fma_f64 v[106:107], v[86:87], s[20:21], v[76:77]
	v_fma_f64 v[86:87], v[74:75], s[20:21], v[94:95]
	;; [unrolled: 1-line block ×3, first 2 shown]
	v_add_f64 v[74:75], v[64:65], -v[60:61]
	v_add_f64 v[94:95], v[52:53], -v[56:57]
	;; [unrolled: 1-line block ×3, first 2 shown]
	v_fma_f64 v[76:77], v[96:97], -0.5, v[68:69]
	v_add_f64 v[49:50], v[68:69], v[64:65]
	v_fma_f64 v[68:69], v[78:79], s[16:17], v[72:73]
	v_fma_f64 v[72:73], v[78:79], s[22:23], v[72:73]
	v_add_f64 v[98:99], v[60:61], -v[64:65]
	v_add_f64 v[100:101], v[56:57], -v[52:53]
	v_add_f64 v[74:75], v[74:75], v[94:95]
	v_add_f64 v[94:95], v[66:67], v[54:55]
	v_fma_f64 v[96:97], v[47:48], s[22:23], v[76:77]
	v_add_f64 v[49:50], v[49:50], v[60:61]
	v_fma_f64 v[68:69], v[47:48], s[18:19], v[68:69]
	v_fma_f64 v[72:73], v[47:48], s[24:25], v[72:73]
	;; [unrolled: 1-line block ×3, first 2 shown]
	v_add_f64 v[76:77], v[70:71], v[66:67]
	v_fma_f64 v[114:115], v[114:115], -0.5, v[70:71]
	v_add_f64 v[64:65], v[64:65], -v[52:53]
	v_add_f64 v[60:61], v[60:61], -v[56:57]
	v_fma_f64 v[70:71], v[94:95], -0.5, v[70:71]
	v_add_f64 v[118:119], v[98:99], v[100:101]
	v_add_f64 v[98:99], v[66:67], -v[62:63]
	v_add_f64 v[66:67], v[62:63], -v[66:67]
	v_add_f64 v[120:121], v[58:59], -v[54:55]
	v_add_f64 v[49:50], v[49:50], v[56:57]
	v_add_f64 v[56:57], v[76:77], v[62:63]
	v_fma_f64 v[76:77], v[64:65], s[22:23], v[114:115]
	v_fma_f64 v[62:63], v[60:61], s[16:17], v[70:71]
	;; [unrolled: 1-line block ×4, first 2 shown]
	v_add_f64 v[100:101], v[54:55], -v[58:59]
	v_fma_f64 v[116:117], v[78:79], s[18:19], v[96:97]
	v_add_f64 v[66:67], v[66:67], v[120:121]
	v_add_f64 v[120:121], v[49:50], v[52:53]
	v_add_f64 v[56:57], v[56:57], v[58:59]
	v_fma_f64 v[49:50], v[64:65], s[24:25], v[62:63]
	v_fma_f64 v[62:63], v[60:61], s[24:25], v[76:77]
	v_fma_f64 v[58:59], v[60:61], s[18:19], v[114:115]
	v_fma_f64 v[60:61], v[64:65], s[18:19], v[70:71]
	v_fma_f64 v[47:48], v[78:79], s[24:25], v[47:48]
	v_add_f64 v[78:79], v[98:99], v[100:101]
	v_fma_f64 v[51:52], v[74:75], s[20:21], v[68:69]
	v_fma_f64 v[64:65], v[118:119], s[20:21], v[116:117]
	v_add_f64 v[114:115], v[56:57], v[54:55]
	v_fma_f64 v[68:69], v[74:75], s[20:21], v[72:73]
	v_fma_f64 v[70:71], v[66:67], s[20:21], v[49:50]
	;; [unrolled: 1-line block ×6, first 2 shown]
	v_mul_f64 v[74:75], v[51:52], s[30:31]
	v_mul_f64 v[50:51], v[51:52], s[24:25]
	;; [unrolled: 1-line block ×3, first 2 shown]
	ds_read_b128 v[20:23], v44 offset:17280
	v_mul_f64 v[78:79], v[55:56], s[28:29]
	v_mul_f64 v[57:58], v[70:71], s[16:17]
	;; [unrolled: 1-line block ×5, first 2 shown]
	v_add_f64 v[48:49], v[102:103], v[120:121]
	v_fma_f64 v[126:127], v[62:63], s[30:31], v[50:51]
	v_fma_f64 v[70:71], v[70:71], s[20:21], v[76:77]
	;; [unrolled: 1-line block ×3, first 2 shown]
	v_add_f64 v[50:51], v[104:105], v[114:115]
	v_add_f64 v[76:77], v[102:103], -v[120:121]
	v_add_f64 v[78:79], v[104:105], -v[114:115]
	s_waitcnt lgkmcnt(0)
	v_add_f64 v[102:103], v[0:1], v[20:21]
	v_add_f64 v[104:105], v[2:3], v[22:23]
	ds_read_b128 v[94:97], v44 offset:30240
	v_fma_f64 v[74:75], v[62:63], s[18:19], v[74:75]
	v_fma_f64 v[118:119], v[64:65], s[20:21], v[57:58]
	v_fma_f64 v[122:123], v[55:56], s[16:17], v[59:60]
	v_fma_f64 v[124:125], v[53:54], s[18:19], v[66:67]
	v_fma_f64 v[116:117], v[68:69], s[24:25], v[116:117]
	ds_read_b128 v[98:101], v44 offset:43200
	s_waitcnt lgkmcnt(1)
	v_add_f64 v[102:103], v[102:103], v[94:95]
	v_add_f64 v[104:105], v[104:105], v[96:97]
	;; [unrolled: 1-line block ×10, first 2 shown]
	v_add_f64 v[72:73], v[84:85], -v[74:75]
	v_add_f64 v[68:69], v[80:81], -v[118:119]
	v_add_f64 v[84:85], v[108:109], -v[122:123]
	v_add_f64 v[80:81], v[112:113], -v[124:125]
	v_add_f64 v[74:75], v[82:83], -v[126:127]
	v_add_f64 v[70:71], v[86:87], -v[70:71]
	v_add_f64 v[86:87], v[110:111], -v[128:129]
	v_add_f64 v[82:83], v[106:107], -v[116:117]
	s_waitcnt lgkmcnt(0)
	v_add_f64 v[106:107], v[94:95], v[98:99]
	v_add_f64 v[118:119], v[96:97], -v[100:101]
	v_add_f64 v[108:109], v[20:21], -v[94:95]
	;; [unrolled: 1-line block ×3, first 2 shown]
	v_add_f64 v[112:113], v[96:97], v[100:101]
	v_add_f64 v[120:121], v[94:95], -v[98:99]
	v_add_f64 v[114:115], v[22:23], -v[96:97]
	;; [unrolled: 1-line block ×3, first 2 shown]
	ds_read_b128 v[94:97], v44 offset:56160
	v_mul_lo_u16_e32 v47, 10, v172
	v_lshlrev_b32_e32 v225, 4, v47
	v_fma_f64 v[170:171], v[112:113], -0.5, v[2:3]
	s_waitcnt lgkmcnt(0)
	v_add_f64 v[122:123], v[22:23], -v[96:97]
	v_add_f64 v[124:125], v[20:21], v[94:95]
	v_add_f64 v[126:127], v[20:21], -v[94:95]
	v_add_f64 v[128:129], v[22:23], v[96:97]
	v_add_f64 v[20:21], v[102:103], v[98:99]
	;; [unrolled: 1-line block ×3, first 2 shown]
	v_add_f64 v[130:131], v[94:95], -v[98:99]
	v_add_f64 v[132:133], v[98:99], -v[94:95]
	;; [unrolled: 1-line block ×4, first 2 shown]
	v_fma_f64 v[124:125], v[124:125], -0.5, v[0:1]
	v_fma_f64 v[112:113], v[128:129], -0.5, v[2:3]
	v_add_f64 v[138:139], v[20:21], v[94:95]
	v_add_f64 v[140:141], v[22:23], v[96:97]
	ds_read_b128 v[20:23], v44 offset:10800
	ds_read_b128 v[94:97], v44 offset:23760
	;; [unrolled: 1-line block ×3, first 2 shown]
	v_add_f64 v[134:135], v[114:115], v[134:135]
	v_add_f64 v[114:115], v[116:117], v[136:137]
	;; [unrolled: 1-line block ×3, first 2 shown]
	s_waitcnt lgkmcnt(1)
	v_add_f64 v[102:103], v[20:21], v[94:95]
	s_waitcnt lgkmcnt(0)
	v_add_f64 v[150:151], v[94:95], -v[98:99]
	v_add_f64 v[152:153], v[98:99], -v[94:95]
	v_add_f64 v[158:159], v[96:97], -v[100:101]
	v_add_f64 v[160:161], v[100:101], -v[96:97]
	v_add_f64 v[110:111], v[110:111], v[132:133]
	v_add_f64 v[142:143], v[102:103], v[98:99]
	;; [unrolled: 1-line block ×4, first 2 shown]
	ds_read_b128 v[102:105], v44 offset:49680
	s_waitcnt lgkmcnt(0)
	v_add_f64 v[146:147], v[98:99], v[102:103]
	v_add_f64 v[148:149], v[100:101], -v[104:105]
	v_add_f64 v[154:155], v[100:101], v[104:105]
	v_add_f64 v[156:157], v[98:99], -v[102:103]
	ds_read_b128 v[98:101], v44 offset:62640
	s_waitcnt lgkmcnt(0)
	s_barrier
	v_fma_f64 v[128:129], v[146:147], -0.5, v[20:21]
	v_add_f64 v[162:163], v[96:97], -v[100:101]
	v_add_f64 v[164:165], v[94:95], v[98:99]
	v_add_f64 v[166:167], v[94:95], -v[98:99]
	v_add_f64 v[94:95], v[96:97], v[100:101]
	v_add_f64 v[96:97], v[142:143], v[102:103]
	;; [unrolled: 1-line block ×3, first 2 shown]
	v_add_f64 v[144:145], v[98:99], -v[102:103]
	v_fma_f64 v[154:155], v[154:155], -0.5, v[22:23]
	v_add_f64 v[102:103], v[102:103], -v[98:99]
	v_fma_f64 v[146:147], v[164:165], -0.5, v[20:21]
	;; [unrolled: 2-line block ×3, first 2 shown]
	v_add_f64 v[96:97], v[96:97], v[98:99]
	v_fma_f64 v[94:95], v[162:163], s[16:17], v[128:129]
	v_add_f64 v[98:99], v[142:143], v[100:101]
	v_fma_f64 v[142:143], v[106:107], -0.5, v[0:1]
	v_add_f64 v[104:105], v[104:105], -v[100:101]
	v_add_f64 v[116:117], v[152:153], v[102:103]
	ds_write_b128 v225, v[4:7]
	ds_write_b128 v225, v[12:15] offset:16
	v_fma_f64 v[102:103], v[156:157], s[16:17], v[164:165]
	v_add_f64 v[0:1], v[138:139], v[96:97]
	v_add_f64 v[20:21], v[138:139], -v[96:97]
	v_add_f64 v[138:139], v[150:151], v[144:145]
	v_fma_f64 v[94:95], v[148:149], s[18:19], v[94:95]
	v_fma_f64 v[96:97], v[166:167], s[22:23], v[154:155]
	v_add_f64 v[2:3], v[140:141], v[98:99]
	v_add_f64 v[22:23], v[140:141], -v[98:99]
	v_add_f64 v[140:141], v[158:159], v[168:169]
	v_add_f64 v[132:133], v[160:161], v[104:105]
	v_fma_f64 v[102:103], v[166:167], s[24:25], v[102:103]
	v_fma_f64 v[104:105], v[148:149], s[22:23], v[146:147]
	;; [unrolled: 1-line block ×4, first 2 shown]
	ds_write_b128 v225, v[8:11] offset:32
	ds_write_b128 v225, v[16:19] offset:48
	ds_write_b128 v225, v[32:35] offset:64
	ds_write_b128 v225, v[36:39] offset:80
	ds_write_b128 v225, v[90:93] offset:96
	ds_write_b128 v225, v[40:43] offset:112
	ds_write_b128 v225, v[28:31] offset:128
	ds_write_b128 v225, v[24:27] offset:144
	v_fma_f64 v[102:103], v[132:133], s[20:21], v[102:103]
	v_fma_f64 v[104:105], v[162:163], s[18:19], v[104:105]
	v_mul_f64 v[98:99], v[94:95], s[30:31]
	v_fma_f64 v[96:97], v[140:141], s[20:21], v[96:97]
	v_mul_f64 v[94:95], v[94:95], s[24:25]
	v_fma_f64 v[104:105], v[116:117], s[20:21], v[104:105]
	v_fma_f64 v[98:99], v[96:97], s[18:19], v[98:99]
	;; [unrolled: 1-line block ×9, first 2 shown]
	v_add_f64 v[94:95], v[106:107], v[98:99]
	v_add_f64 v[98:99], v[106:107], -v[98:99]
	v_mul_f64 v[106:107], v[102:103], s[16:17]
	v_add_f64 v[96:97], v[108:109], v[100:101]
	v_add_f64 v[100:101], v[108:109], -v[100:101]
	v_fma_f64 v[106:107], v[104:105], s[20:21], v[106:107]
	v_mul_f64 v[104:105], v[104:105], s[22:23]
	v_fma_f64 v[108:109], v[102:103], s[20:21], v[104:105]
	v_fma_f64 v[102:103], v[118:119], s[22:23], v[124:125]
	;; [unrolled: 1-line block ×14, first 2 shown]
	v_add_f64 v[102:103], v[136:137], v[106:107]
	v_add_f64 v[106:107], v[136:137], -v[106:107]
	v_fma_f64 v[110:111], v[126:127], s[18:19], v[110:111]
	v_fma_f64 v[112:113], v[166:167], s[18:19], v[112:113]
	;; [unrolled: 1-line block ×3, first 2 shown]
	v_add_f64 v[104:105], v[144:145], v[108:109]
	v_add_f64 v[108:109], v[144:145], -v[108:109]
	v_fma_f64 v[136:137], v[114:115], s[20:21], v[110:111]
	v_fma_f64 v[110:111], v[148:149], s[16:17], v[146:147]
	;; [unrolled: 1-line block ×8, first 2 shown]
	v_mul_f64 v[114:115], v[110:111], s[28:29]
	v_fma_f64 v[114:115], v[112:113], s[16:17], v[114:115]
	v_mul_f64 v[112:113], v[112:113], s[28:29]
	v_fma_f64 v[116:117], v[110:111], s[22:23], v[112:113]
	v_add_f64 v[110:111], v[124:125], v[114:115]
	v_add_f64 v[114:115], v[124:125], -v[114:115]
	v_fma_f64 v[124:125], v[162:163], s[22:23], v[128:129]
	v_fma_f64 v[128:129], v[166:167], s[16:17], v[154:155]
	v_add_f64 v[112:113], v[136:137], v[116:117]
	v_add_f64 v[116:117], v[136:137], -v[116:117]
	v_fma_f64 v[124:125], v[148:149], s[24:25], v[124:125]
	v_fma_f64 v[122:123], v[156:157], s[18:19], v[128:129]
	;; [unrolled: 1-line block ×4, first 2 shown]
	v_mul_f64 v[120:121], v[124:125], s[26:27]
	v_fma_f64 v[122:123], v[118:119], s[18:19], v[120:121]
	v_mul_f64 v[118:119], v[118:119], s[26:27]
	v_add_f64 v[128:129], v[126:127], -v[122:123]
	v_fma_f64 v[124:125], v[124:125], s[24:25], v[118:119]
	v_add_f64 v[118:119], v[126:127], v[122:123]
	v_add_co_u32_e64 v127, s[0:1], s6, v172
	v_add_co_u32_e32 v126, vcc, s2, v172
	v_mul_u32_u24_e32 v4, 10, v127
	v_lshlrev_b32_e32 v226, 4, v4
	v_add_f64 v[120:121], v[130:131], v[124:125]
	v_mul_u32_u24_e32 v4, 10, v126
	v_lshlrev_b32_e32 v168, 4, v4
	s_movk_i32 s2, 0xcd
	v_add_f64 v[130:131], v[130:131], -v[124:125]
	ds_write_b128 v226, v[48:51]
	ds_write_b128 v226, v[64:67] offset:16
	ds_write_b128 v226, v[60:63] offset:32
	;; [unrolled: 1-line block ×9, first 2 shown]
	ds_write_b128 v168, v[0:3]
	ds_write_b128 v168, v[94:97] offset:16
	ds_write_b128 v168, v[102:105] offset:32
	;; [unrolled: 1-line block ×9, first 2 shown]
	v_mul_lo_u16_sdwa v0, v172, s2 dst_sel:DWORD dst_unused:UNUSED_PAD src0_sel:BYTE_0 src1_sel:DWORD
	v_lshrrev_b16_e32 v128, 11, v0
	v_mul_lo_u16_e32 v0, 10, v128
	v_sub_u16_e32 v0, v172, v0
	v_and_b32_e32 v129, 0xff, v0
	v_lshlrev_b32_e32 v0, 6, v129
	s_waitcnt lgkmcnt(0)
	s_barrier
	global_load_dwordx4 v[72:75], v0, s[14:15]
	global_load_dwordx4 v[68:71], v0, s[14:15] offset:16
	global_load_dwordx4 v[59:62], v0, s[14:15] offset:32
	;; [unrolled: 1-line block ×3, first 2 shown]
	s_mov_b32 s6, 0xcccd
	v_mul_u32_u24_sdwa v0, v127, s6 dst_sel:DWORD dst_unused:UNUSED_PAD src0_sel:WORD_0 src1_sel:DWORD
	v_lshrrev_b32_e32 v130, 19, v0
	v_mul_lo_u16_e32 v0, 10, v130
	v_sub_u16_e32 v131, v127, v0
	v_lshlrev_b16_e32 v0, 2, v131
	v_lshlrev_b32_e32 v0, 4, v0
	global_load_dwordx4 v[90:93], v0, s[14:15]
	global_load_dwordx4 v[84:87], v0, s[14:15] offset:16
	global_load_dwordx4 v[80:83], v0, s[14:15] offset:32
	;; [unrolled: 1-line block ×3, first 2 shown]
	v_mul_u32_u24_sdwa v0, v126, s6 dst_sel:DWORD dst_unused:UNUSED_PAD src0_sel:WORD_0 src1_sel:DWORD
	v_lshrrev_b32_e32 v132, 19, v0
	v_mul_lo_u16_e32 v0, 10, v132
	v_sub_u16_e32 v133, v126, v0
	v_lshlrev_b16_e32 v0, 2, v133
	v_lshlrev_b32_e32 v0, 4, v0
	global_load_dwordx4 v[106:109], v0, s[14:15]
	global_load_dwordx4 v[102:105], v0, s[14:15] offset:16
	global_load_dwordx4 v[98:101], v0, s[14:15] offset:32
	;; [unrolled: 1-line block ×3, first 2 shown]
	ds_read_b128 v[0:3], v44 offset:12960
	ds_read_b128 v[4:7], v44 offset:25920
	;; [unrolled: 1-line block ×8, first 2 shown]
	s_waitcnt vmcnt(11)
	buffer_store_dword v72, off, s[40:43], 0 offset:588 ; 4-byte Folded Spill
	s_nop 0
	buffer_store_dword v73, off, s[40:43], 0 offset:592 ; 4-byte Folded Spill
	buffer_store_dword v74, off, s[40:43], 0 offset:596 ; 4-byte Folded Spill
	buffer_store_dword v75, off, s[40:43], 0 offset:600 ; 4-byte Folded Spill
	s_waitcnt vmcnt(14)
	buffer_store_dword v68, off, s[40:43], 0 offset:572 ; 4-byte Folded Spill
	s_nop 0
	buffer_store_dword v69, off, s[40:43], 0 offset:576 ; 4-byte Folded Spill
	buffer_store_dword v70, off, s[40:43], 0 offset:580 ; 4-byte Folded Spill
	buffer_store_dword v71, off, s[40:43], 0 offset:584 ; 4-byte Folded Spill
	;; [unrolled: 6-line block ×3, first 2 shown]
	ds_read_b128 v[51:54], v44 offset:17280
	ds_read_b128 v[55:58], v44 offset:30240
	s_movk_i32 s2, 0x195
	s_waitcnt lgkmcnt(9)
	v_mul_f64 v[12:13], v[2:3], v[74:75]
	v_mul_f64 v[14:15], v[0:1], v[74:75]
	s_waitcnt lgkmcnt(8)
	v_mul_f64 v[30:31], v[4:5], v[70:71]
	s_waitcnt lgkmcnt(7)
	v_mul_f64 v[32:33], v[10:11], v[61:62]
	v_mul_f64 v[16:17], v[6:7], v[70:71]
	;; [unrolled: 1-line block ×3, first 2 shown]
	v_fma_f64 v[64:65], v[0:1], v[72:73], -v[12:13]
	v_fma_f64 v[12:13], v[2:3], v[72:73], v[14:15]
	v_fma_f64 v[14:15], v[6:7], v[68:69], v[30:31]
	v_fma_f64 v[118:119], v[8:9], v[59:60], -v[32:33]
	s_waitcnt vmcnt(20)
	v_mov_b32_e32 v30, v36
	v_mov_b32_e32 v31, v37
	;; [unrolled: 1-line block ×4, first 2 shown]
	buffer_store_dword v30, off, s[40:43], 0 offset:540 ; 4-byte Folded Spill
	s_nop 0
	buffer_store_dword v31, off, s[40:43], 0 offset:544 ; 4-byte Folded Spill
	buffer_store_dword v32, off, s[40:43], 0 offset:548 ; 4-byte Folded Spill
	buffer_store_dword v33, off, s[40:43], 0 offset:552 ; 4-byte Folded Spill
	s_waitcnt vmcnt(23)
	buffer_store_dword v90, off, s[40:43], 0 offset:524 ; 4-byte Folded Spill
	s_nop 0
	buffer_store_dword v91, off, s[40:43], 0 offset:528 ; 4-byte Folded Spill
	buffer_store_dword v92, off, s[40:43], 0 offset:532 ; 4-byte Folded Spill
	buffer_store_dword v93, off, s[40:43], 0 offset:536 ; 4-byte Folded Spill
	s_waitcnt vmcnt(26)
	;; [unrolled: 6-line block ×3, first 2 shown]
	buffer_store_dword v80, off, s[40:43], 0 offset:492 ; 4-byte Folded Spill
	s_nop 0
	buffer_store_dword v81, off, s[40:43], 0 offset:496 ; 4-byte Folded Spill
	buffer_store_dword v82, off, s[40:43], 0 offset:500 ; 4-byte Folded Spill
	;; [unrolled: 1-line block ×3, first 2 shown]
	v_fma_f64 v[66:67], v[4:5], v[68:69], -v[16:17]
	v_fma_f64 v[16:17], v[10:11], v[59:60], v[34:35]
	s_waitcnt vmcnt(31)
	buffer_store_dword v106, off, s[40:43], 0 offset:640 ; 4-byte Folded Spill
	s_nop 0
	buffer_store_dword v107, off, s[40:43], 0 offset:644 ; 4-byte Folded Spill
	buffer_store_dword v108, off, s[40:43], 0 offset:648 ; 4-byte Folded Spill
	;; [unrolled: 1-line block ×3, first 2 shown]
	s_waitcnt vmcnt(34)
	buffer_store_dword v102, off, s[40:43], 0 offset:672 ; 4-byte Folded Spill
	s_nop 0
	buffer_store_dword v103, off, s[40:43], 0 offset:676 ; 4-byte Folded Spill
	buffer_store_dword v104, off, s[40:43], 0 offset:680 ; 4-byte Folded Spill
	;; [unrolled: 1-line block ×3, first 2 shown]
	v_add_f64 v[140:141], v[66:67], -v[118:119]
	s_waitcnt lgkmcnt(6)
	v_mul_f64 v[0:1], v[20:21], v[32:33]
	v_mul_f64 v[2:3], v[18:19], v[32:33]
	s_waitcnt lgkmcnt(5)
	v_mul_f64 v[4:5], v[24:25], v[92:93]
	v_mul_f64 v[6:7], v[22:23], v[92:93]
	s_waitcnt lgkmcnt(4)
	v_mul_f64 v[10:11], v[26:27], v[86:87]
	s_waitcnt lgkmcnt(3)
	v_mul_f64 v[36:37], v[42:43], v[82:83]
	v_mul_f64 v[8:9], v[28:29], v[86:87]
	v_fma_f64 v[120:121], v[18:19], v[30:31], -v[0:1]
	v_mul_f64 v[0:1], v[40:41], v[82:83]
	v_fma_f64 v[18:19], v[20:21], v[30:31], v[2:3]
	v_fma_f64 v[30:31], v[22:23], v[90:91], -v[4:5]
	v_fma_f64 v[32:33], v[24:25], v[90:91], v[6:7]
	v_fma_f64 v[34:35], v[28:29], v[84:85], v[10:11]
	v_fma_f64 v[28:29], v[40:41], v[80:81], -v[36:37]
	s_waitcnt lgkmcnt(2)
	v_mul_f64 v[4:5], v[49:50], v[78:79]
	v_mul_f64 v[6:7], v[47:48], v[78:79]
	v_fma_f64 v[36:37], v[42:43], v[80:81], v[0:1]
	ds_read_b128 v[0:3], v44 offset:43200
	buffer_store_dword v76, off, s[40:43], 0 offset:704 ; 4-byte Folded Spill
	s_nop 0
	buffer_store_dword v77, off, s[40:43], 0 offset:708 ; 4-byte Folded Spill
	buffer_store_dword v78, off, s[40:43], 0 offset:712 ; 4-byte Folded Spill
	;; [unrolled: 1-line block ×3, first 2 shown]
	v_fma_f64 v[38:39], v[26:27], v[84:85], -v[8:9]
	s_waitcnt lgkmcnt(2)
	v_mul_f64 v[8:9], v[53:54], v[108:109]
	v_mul_f64 v[10:11], v[51:52], v[108:109]
	s_waitcnt lgkmcnt(1)
	v_mul_f64 v[20:21], v[57:58], v[104:105]
	v_mul_f64 v[22:23], v[55:56], v[104:105]
	v_add_f64 v[124:125], v[64:65], -v[120:121]
	v_add_f64 v[24:25], v[14:15], -v[16:17]
	;; [unrolled: 1-line block ×3, first 2 shown]
	v_fma_f64 v[42:43], v[47:48], v[76:77], -v[4:5]
	v_fma_f64 v[40:41], v[49:50], v[76:77], v[6:7]
	ds_read_b128 v[4:7], v44 offset:56160
	s_waitcnt vmcnt(41)
	buffer_store_dword v98, off, s[40:43], 0 offset:736 ; 4-byte Folded Spill
	s_nop 0
	buffer_store_dword v99, off, s[40:43], 0 offset:740 ; 4-byte Folded Spill
	buffer_store_dword v100, off, s[40:43], 0 offset:744 ; 4-byte Folded Spill
	;; [unrolled: 1-line block ×3, first 2 shown]
	s_waitcnt vmcnt(44)
	buffer_store_dword v94, off, s[40:43], 0 offset:720 ; 4-byte Folded Spill
	s_nop 0
	buffer_store_dword v95, off, s[40:43], 0 offset:724 ; 4-byte Folded Spill
	buffer_store_dword v96, off, s[40:43], 0 offset:728 ; 4-byte Folded Spill
	;; [unrolled: 1-line block ×3, first 2 shown]
	v_fma_f64 v[48:49], v[51:52], v[106:107], -v[8:9]
	v_fma_f64 v[52:53], v[53:54], v[106:107], v[10:11]
	v_fma_f64 v[50:51], v[55:56], v[102:103], -v[20:21]
	v_fma_f64 v[54:55], v[57:58], v[102:103], v[22:23]
	v_add_co_u32_e32 v47, vcc, s2, v172
	s_movk_i32 s2, 0x21c
	v_add_co_u32_e64 v122, s[2:3], s2, v172
	s_movk_i32 s2, 0x2a3
	v_add_co_u32_e64 v123, s[2:3], s2, v172
	v_add_f64 v[142:143], v[30:31], -v[42:43]
	v_add_f64 v[150:151], v[50:51], -v[48:49]
	s_waitcnt lgkmcnt(1)
	v_mul_f64 v[8:9], v[2:3], v[100:101]
	s_waitcnt lgkmcnt(0)
	v_mul_f64 v[22:23], v[4:5], v[96:97]
	v_mul_f64 v[10:11], v[0:1], v[100:101]
	;; [unrolled: 1-line block ×3, first 2 shown]
	v_fma_f64 v[60:61], v[0:1], v[98:99], -v[8:9]
	v_mul_u32_u24_sdwa v0, v47, s6 dst_sel:DWORD dst_unused:UNUSED_PAD src0_sel:WORD_0 src1_sel:DWORD
	v_lshrrev_b32_e32 v134, 19, v0
	v_mul_lo_u16_e32 v0, 10, v134
	v_sub_u16_e32 v135, v47, v0
	v_lshlrev_b16_e32 v0, 2, v135
	v_fma_f64 v[58:59], v[6:7], v[94:95], v[22:23]
	v_lshlrev_b32_e32 v6, 4, v0
	v_fma_f64 v[56:57], v[2:3], v[98:99], v[10:11]
	global_load_dwordx4 v[7:10], v6, s[14:15]
	s_waitcnt vmcnt(0)
	buffer_store_dword v7, off, s[40:43], 0 offset:784 ; 4-byte Folded Spill
	s_nop 0
	buffer_store_dword v8, off, s[40:43], 0 offset:788 ; 4-byte Folded Spill
	buffer_store_dword v9, off, s[40:43], 0 offset:792 ; 4-byte Folded Spill
	;; [unrolled: 1-line block ×3, first 2 shown]
	ds_read_b128 v[0:3], v44 offset:19440
	v_fma_f64 v[62:63], v[4:5], v[94:95], -v[20:21]
	v_add_f64 v[22:23], v[12:13], -v[18:19]
	v_add_f64 v[148:149], v[50:51], -v[60:61]
	s_waitcnt lgkmcnt(0)
	v_mul_f64 v[4:5], v[2:3], v[9:10]
	v_fma_f64 v[68:69], v[0:1], v[7:8], -v[4:5]
	v_mul_f64 v[0:1], v[0:1], v[9:10]
	v_fma_f64 v[72:73], v[2:3], v[7:8], v[0:1]
	global_load_dwordx4 v[7:10], v6, s[14:15] offset:16
	s_waitcnt vmcnt(0)
	buffer_store_dword v7, off, s[40:43], 0 offset:800 ; 4-byte Folded Spill
	s_nop 0
	buffer_store_dword v8, off, s[40:43], 0 offset:804 ; 4-byte Folded Spill
	buffer_store_dword v9, off, s[40:43], 0 offset:808 ; 4-byte Folded Spill
	;; [unrolled: 1-line block ×3, first 2 shown]
	ds_read_b128 v[0:3], v44 offset:32400
	s_waitcnt lgkmcnt(0)
	v_mul_f64 v[4:5], v[2:3], v[9:10]
	v_fma_f64 v[70:71], v[0:1], v[7:8], -v[4:5]
	v_mul_f64 v[0:1], v[0:1], v[9:10]
	v_add_f64 v[154:155], v[70:71], -v[68:69]
	v_fma_f64 v[74:75], v[2:3], v[7:8], v[0:1]
	global_load_dwordx4 v[7:10], v6, s[14:15] offset:32
	s_waitcnt vmcnt(0)
	buffer_store_dword v7, off, s[40:43], 0 offset:816 ; 4-byte Folded Spill
	s_nop 0
	buffer_store_dword v8, off, s[40:43], 0 offset:820 ; 4-byte Folded Spill
	buffer_store_dword v9, off, s[40:43], 0 offset:824 ; 4-byte Folded Spill
	;; [unrolled: 1-line block ×3, first 2 shown]
	ds_read_b128 v[0:3], v44 offset:45360
	s_waitcnt lgkmcnt(0)
	v_mul_f64 v[4:5], v[2:3], v[9:10]
	v_fma_f64 v[114:115], v[0:1], v[7:8], -v[4:5]
	v_mul_f64 v[0:1], v[0:1], v[9:10]
	v_fma_f64 v[76:77], v[2:3], v[7:8], v[0:1]
	global_load_dwordx4 v[6:9], v6, s[14:15] offset:48
	s_waitcnt vmcnt(0)
	buffer_store_dword v6, off, s[40:43], 0 offset:832 ; 4-byte Folded Spill
	s_nop 0
	buffer_store_dword v7, off, s[40:43], 0 offset:836 ; 4-byte Folded Spill
	buffer_store_dword v8, off, s[40:43], 0 offset:840 ; 4-byte Folded Spill
	buffer_store_dword v9, off, s[40:43], 0 offset:844 ; 4-byte Folded Spill
	ds_read_b128 v[0:3], v44 offset:58320
	s_waitcnt lgkmcnt(0)
	v_mul_f64 v[4:5], v[2:3], v[8:9]
	v_fma_f64 v[116:117], v[0:1], v[6:7], -v[4:5]
	v_mul_f64 v[0:1], v[0:1], v[8:9]
	v_fma_f64 v[78:79], v[2:3], v[6:7], v[0:1]
	v_mul_u32_u24_sdwa v0, v122, s6 dst_sel:DWORD dst_unused:UNUSED_PAD src0_sel:WORD_0 src1_sel:DWORD
	v_lshrrev_b32_e32 v136, 19, v0
	v_mul_lo_u16_e32 v0, 10, v136
	v_sub_u16_e32 v137, v122, v0
	v_lshlrev_b16_e32 v0, 2, v137
	v_lshlrev_b32_e32 v6, 4, v0
	global_load_dwordx4 v[7:10], v6, s[14:15]
	s_waitcnt vmcnt(0)
	buffer_store_dword v7, off, s[40:43], 0 offset:916 ; 4-byte Folded Spill
	s_nop 0
	buffer_store_dword v8, off, s[40:43], 0 offset:920 ; 4-byte Folded Spill
	buffer_store_dword v9, off, s[40:43], 0 offset:924 ; 4-byte Folded Spill
	buffer_store_dword v10, off, s[40:43], 0 offset:928 ; 4-byte Folded Spill
	ds_read_b128 v[0:3], v44 offset:21600
	s_waitcnt lgkmcnt(0)
	v_mul_f64 v[4:5], v[2:3], v[9:10]
	v_fma_f64 v[104:105], v[0:1], v[7:8], -v[4:5]
	v_mul_f64 v[0:1], v[0:1], v[9:10]
	v_fma_f64 v[98:99], v[2:3], v[7:8], v[0:1]
	global_load_dwordx4 v[7:10], v6, s[14:15] offset:16
	s_waitcnt vmcnt(0)
	buffer_store_dword v7, off, s[40:43], 0 offset:932 ; 4-byte Folded Spill
	s_nop 0
	buffer_store_dword v8, off, s[40:43], 0 offset:936 ; 4-byte Folded Spill
	buffer_store_dword v9, off, s[40:43], 0 offset:940 ; 4-byte Folded Spill
	buffer_store_dword v10, off, s[40:43], 0 offset:944 ; 4-byte Folded Spill
	ds_read_b128 v[0:3], v44 offset:34560
	s_waitcnt lgkmcnt(0)
	v_mul_f64 v[4:5], v[2:3], v[9:10]
	v_fma_f64 v[108:109], v[0:1], v[7:8], -v[4:5]
	v_mul_f64 v[0:1], v[0:1], v[9:10]
	v_fma_f64 v[100:101], v[2:3], v[7:8], v[0:1]
	global_load_dwordx4 v[7:10], v6, s[14:15] offset:32
	;; [unrolled: 13-line block ×3, first 2 shown]
	s_waitcnt vmcnt(0)
	buffer_store_dword v6, off, s[40:43], 0 offset:964 ; 4-byte Folded Spill
	s_nop 0
	buffer_store_dword v7, off, s[40:43], 0 offset:968 ; 4-byte Folded Spill
	buffer_store_dword v8, off, s[40:43], 0 offset:972 ; 4-byte Folded Spill
	;; [unrolled: 1-line block ×3, first 2 shown]
	ds_read_b128 v[0:3], v44 offset:60480
	s_waitcnt lgkmcnt(0)
	v_mul_f64 v[4:5], v[2:3], v[8:9]
	v_fma_f64 v[112:113], v[0:1], v[6:7], -v[4:5]
	v_mul_f64 v[0:1], v[0:1], v[8:9]
	v_fma_f64 v[106:107], v[2:3], v[6:7], v[0:1]
	v_mul_u32_u24_sdwa v0, v123, s6 dst_sel:DWORD dst_unused:UNUSED_PAD src0_sel:WORD_0 src1_sel:DWORD
	v_lshrrev_b32_e32 v138, 19, v0
	v_mul_lo_u16_e32 v0, 10, v138
	v_sub_u16_e32 v139, v123, v0
	v_lshlrev_b16_e32 v0, 2, v139
	v_lshlrev_b32_e32 v6, 4, v0
	global_load_dwordx4 v[7:10], v6, s[14:15]
	s_waitcnt vmcnt(0)
	buffer_store_dword v7, off, s[40:43], 0 offset:1084 ; 4-byte Folded Spill
	s_nop 0
	buffer_store_dword v8, off, s[40:43], 0 offset:1088 ; 4-byte Folded Spill
	buffer_store_dword v9, off, s[40:43], 0 offset:1092 ; 4-byte Folded Spill
	;; [unrolled: 1-line block ×3, first 2 shown]
	ds_read_b128 v[0:3], v44 offset:23760
	s_mov_b32 s6, s12
	s_waitcnt lgkmcnt(0)
	v_mul_f64 v[4:5], v[2:3], v[9:10]
	v_fma_f64 v[90:91], v[0:1], v[7:8], -v[4:5]
	v_mul_f64 v[0:1], v[0:1], v[9:10]
	v_fma_f64 v[80:81], v[2:3], v[7:8], v[0:1]
	global_load_dwordx4 v[7:10], v6, s[14:15] offset:16
	s_waitcnt vmcnt(0)
	buffer_store_dword v7, off, s[40:43], 0 offset:1100 ; 4-byte Folded Spill
	s_nop 0
	buffer_store_dword v8, off, s[40:43], 0 offset:1104 ; 4-byte Folded Spill
	buffer_store_dword v9, off, s[40:43], 0 offset:1108 ; 4-byte Folded Spill
	buffer_store_dword v10, off, s[40:43], 0 offset:1112 ; 4-byte Folded Spill
	ds_read_b128 v[0:3], v44 offset:36720
	s_waitcnt lgkmcnt(0)
	v_mul_f64 v[4:5], v[2:3], v[9:10]
	v_fma_f64 v[92:93], v[0:1], v[7:8], -v[4:5]
	v_mul_f64 v[0:1], v[0:1], v[9:10]
	v_fma_f64 v[82:83], v[2:3], v[7:8], v[0:1]
	global_load_dwordx4 v[7:10], v6, s[14:15] offset:32
	s_waitcnt vmcnt(0)
	buffer_store_dword v7, off, s[40:43], 0 offset:1116 ; 4-byte Folded Spill
	s_nop 0
	buffer_store_dword v8, off, s[40:43], 0 offset:1120 ; 4-byte Folded Spill
	buffer_store_dword v9, off, s[40:43], 0 offset:1124 ; 4-byte Folded Spill
	;; [unrolled: 1-line block ×3, first 2 shown]
	ds_read_b128 v[0:3], v44 offset:49680
	s_waitcnt lgkmcnt(0)
	v_mul_f64 v[4:5], v[2:3], v[9:10]
	v_fma_f64 v[94:95], v[0:1], v[7:8], -v[4:5]
	v_mul_f64 v[0:1], v[0:1], v[9:10]
	v_add_f64 v[162:163], v[92:93], -v[94:95]
	v_fma_f64 v[84:85], v[2:3], v[7:8], v[0:1]
	global_load_dwordx4 v[6:9], v6, s[14:15] offset:48
	s_waitcnt vmcnt(0)
	buffer_store_dword v6, off, s[40:43], 0 offset:1132 ; 4-byte Folded Spill
	s_nop 0
	buffer_store_dword v7, off, s[40:43], 0 offset:1136 ; 4-byte Folded Spill
	buffer_store_dword v8, off, s[40:43], 0 offset:1140 ; 4-byte Folded Spill
	;; [unrolled: 1-line block ×3, first 2 shown]
	ds_read_b128 v[0:3], v44 offset:62640
	s_waitcnt lgkmcnt(0)
	v_mul_f64 v[4:5], v[2:3], v[8:9]
	v_fma_f64 v[96:97], v[0:1], v[6:7], -v[4:5]
	v_mul_f64 v[0:1], v[0:1], v[8:9]
	ds_read_b128 v[8:11], v44
	v_add_f64 v[160:161], v[90:91], -v[96:97]
	v_fma_f64 v[86:87], v[2:3], v[6:7], v[0:1]
	v_add_f64 v[0:1], v[64:65], -v[66:67]
	v_add_f64 v[2:3], v[120:121], -v[118:119]
	v_add_f64 v[4:5], v[0:1], v[2:3]
	v_add_f64 v[0:1], v[12:13], -v[14:15]
	v_add_f64 v[2:3], v[18:19], -v[16:17]
	v_add_f64 v[6:7], v[0:1], v[2:3]
	v_add_f64 v[2:3], v[14:15], v[16:17]
	;; [unrolled: 1-line block ×3, first 2 shown]
	s_waitcnt lgkmcnt(0)
	v_fma_f64 v[26:27], v[2:3], -0.5, v[10:11]
	v_fma_f64 v[20:21], v[0:1], -0.5, v[8:9]
	v_fma_f64 v[2:3], v[124:125], s[22:23], v[26:27]
	v_fma_f64 v[26:27], v[124:125], s[16:17], v[26:27]
	;; [unrolled: 1-line block ×10, first 2 shown]
	v_add_f64 v[26:27], v[12:13], v[18:19]
	v_fma_f64 v[0:1], v[4:5], s[20:21], v[0:1]
	v_fma_f64 v[4:5], v[4:5], s[20:21], v[20:21]
	v_add_f64 v[20:21], v[64:65], v[120:121]
	v_fma_f64 v[26:27], v[26:27], -0.5, v[10:11]
	v_add_f64 v[10:11], v[10:11], v[12:13]
	v_add_f64 v[12:13], v[14:15], -v[12:13]
	v_fma_f64 v[20:21], v[20:21], -0.5, v[8:9]
	v_add_f64 v[8:9], v[8:9], v[64:65]
	v_add_f64 v[64:65], v[66:67], -v[64:65]
	v_add_f64 v[10:11], v[10:11], v[14:15]
	v_add_f64 v[14:15], v[16:17], -v[18:19]
	v_add_f64 v[8:9], v[8:9], v[66:67]
	v_fma_f64 v[66:67], v[24:25], s[22:23], v[20:21]
	v_fma_f64 v[20:21], v[24:25], s[16:17], v[20:21]
	v_add_f64 v[24:25], v[118:119], -v[120:121]
	v_add_f64 v[10:11], v[10:11], v[16:17]
	v_fma_f64 v[16:17], v[140:141], s[16:17], v[26:27]
	v_add_f64 v[14:15], v[12:13], v[14:15]
	v_add_f64 v[8:9], v[8:9], v[118:119]
	v_fma_f64 v[20:21], v[22:23], s[24:25], v[20:21]
	v_add_f64 v[24:25], v[64:65], v[24:25]
	v_add_f64 v[10:11], v[10:11], v[18:19]
	v_fma_f64 v[18:19], v[140:141], s[22:23], v[26:27]
	v_fma_f64 v[26:27], v[22:23], s[18:19], v[66:67]
	;; [unrolled: 1-line block ×3, first 2 shown]
	ds_read_b128 v[64:67], v44 offset:2160
	v_add_f64 v[8:9], v[8:9], v[120:121]
	v_add_f64 v[120:121], v[32:33], -v[40:41]
	v_fma_f64 v[22:23], v[124:125], s[18:19], v[18:19]
	v_fma_f64 v[16:17], v[24:25], s[20:21], v[26:27]
	;; [unrolled: 1-line block ×4, first 2 shown]
	v_add_f64 v[20:21], v[30:31], -v[38:39]
	v_add_f64 v[124:125], v[34:35], -v[36:37]
	v_fma_f64 v[14:15], v[14:15], s[20:21], v[22:23]
	v_add_f64 v[22:23], v[42:43], -v[28:29]
	v_add_f64 v[24:25], v[20:21], v[22:23]
	v_add_f64 v[20:21], v[32:33], -v[34:35]
	v_add_f64 v[22:23], v[40:41], -v[36:37]
	v_add_f64 v[26:27], v[20:21], v[22:23]
	v_add_f64 v[20:21], v[38:39], v[28:29]
	;; [unrolled: 1-line block ×3, first 2 shown]
	s_waitcnt lgkmcnt(0)
	v_fma_f64 v[118:119], v[20:21], -0.5, v[64:65]
	v_fma_f64 v[140:141], v[22:23], -0.5, v[66:67]
	v_fma_f64 v[20:21], v[120:121], s[16:17], v[118:119]
	v_fma_f64 v[22:23], v[142:143], s[22:23], v[140:141]
	;; [unrolled: 1-line block ×12, first 2 shown]
	v_add_f64 v[118:119], v[30:31], v[42:43]
	v_add_f64 v[140:141], v[32:33], v[40:41]
	v_fma_f64 v[118:119], v[118:119], -0.5, v[64:65]
	v_fma_f64 v[140:141], v[140:141], -0.5, v[66:67]
	v_add_f64 v[64:65], v[64:65], v[30:31]
	v_add_f64 v[66:67], v[66:67], v[32:33]
	v_add_f64 v[32:33], v[34:35], -v[32:33]
	v_fma_f64 v[146:147], v[124:125], s[22:23], v[118:119]
	v_fma_f64 v[118:119], v[124:125], s[16:17], v[118:119]
	v_add_f64 v[64:65], v[64:65], v[38:39]
	v_add_f64 v[38:39], v[38:39], -v[30:31]
	v_add_f64 v[30:31], v[66:67], v[34:35]
	v_add_f64 v[66:67], v[28:29], -v[42:43]
	v_add_f64 v[34:35], v[36:37], -v[40:41]
	v_add_f64 v[64:65], v[64:65], v[28:29]
	v_add_f64 v[30:31], v[30:31], v[36:37]
	v_fma_f64 v[36:37], v[144:145], s[16:17], v[140:141]
	v_add_f64 v[34:35], v[32:33], v[34:35]
	v_add_f64 v[28:29], v[64:65], v[42:43]
	;; [unrolled: 1-line block ×4, first 2 shown]
	v_fma_f64 v[40:41], v[144:145], s[22:23], v[140:141]
	v_fma_f64 v[38:39], v[120:121], s[18:19], v[146:147]
	v_fma_f64 v[64:65], v[120:121], s[24:25], v[118:119]
	v_fma_f64 v[32:33], v[142:143], s[24:25], v[36:37]
	v_add_f64 v[140:141], v[52:53], -v[58:59]
	v_add_f64 v[146:147], v[48:49], -v[62:63]
	v_fma_f64 v[40:41], v[142:143], s[18:19], v[40:41]
	v_fma_f64 v[36:37], v[42:43], s[20:21], v[38:39]
	v_add_f64 v[142:143], v[54:55], -v[56:57]
	v_fma_f64 v[38:39], v[34:35], s[20:21], v[32:33]
	v_fma_f64 v[32:33], v[42:43], s[20:21], v[64:65]
	v_add_f64 v[42:43], v[62:63], -v[60:61]
	ds_read_b128 v[64:67], v44 offset:4320
	v_fma_f64 v[34:35], v[34:35], s[20:21], v[40:41]
	v_add_f64 v[40:41], v[48:49], -v[50:51]
	v_add_f64 v[118:119], v[40:41], v[42:43]
	v_add_f64 v[40:41], v[52:53], -v[54:55]
	v_add_f64 v[42:43], v[58:59], -v[56:57]
	v_add_f64 v[120:121], v[40:41], v[42:43]
	v_add_f64 v[40:41], v[50:51], v[60:61]
	;; [unrolled: 1-line block ×3, first 2 shown]
	s_waitcnt lgkmcnt(0)
	v_fma_f64 v[124:125], v[40:41], -0.5, v[64:65]
	v_fma_f64 v[144:145], v[42:43], -0.5, v[66:67]
	v_fma_f64 v[40:41], v[140:141], s[16:17], v[124:125]
	v_fma_f64 v[42:43], v[146:147], s[22:23], v[144:145]
	;; [unrolled: 1-line block ×12, first 2 shown]
	v_add_f64 v[124:125], v[48:49], v[62:63]
	v_add_f64 v[144:145], v[52:53], v[58:59]
	v_fma_f64 v[124:125], v[124:125], -0.5, v[64:65]
	v_fma_f64 v[144:145], v[144:145], -0.5, v[66:67]
	v_add_f64 v[64:65], v[64:65], v[48:49]
	v_add_f64 v[66:67], v[66:67], v[52:53]
	v_add_f64 v[52:53], v[54:55], -v[52:53]
	v_fma_f64 v[152:153], v[142:143], s[22:23], v[124:125]
	v_fma_f64 v[124:125], v[142:143], s[16:17], v[124:125]
	v_add_f64 v[64:65], v[64:65], v[50:51]
	v_add_f64 v[48:49], v[66:67], v[54:55]
	v_add_f64 v[54:55], v[56:57], -v[58:59]
	v_add_f64 v[50:51], v[64:65], v[60:61]
	v_add_f64 v[64:65], v[48:49], v[56:57]
	v_add_f64 v[60:61], v[60:61], -v[62:63]
	v_fma_f64 v[56:57], v[148:149], s[16:17], v[144:145]
	v_add_f64 v[54:55], v[52:53], v[54:55]
	v_add_f64 v[48:49], v[50:51], v[62:63]
	;; [unrolled: 1-line block ×3, first 2 shown]
	v_fma_f64 v[58:59], v[148:149], s[22:23], v[144:145]
	v_add_f64 v[60:61], v[150:151], v[60:61]
	v_fma_f64 v[62:63], v[140:141], s[18:19], v[152:153]
	v_fma_f64 v[64:65], v[140:141], s[24:25], v[124:125]
	v_fma_f64 v[52:53], v[146:147], s[24:25], v[56:57]
	ds_read_b128 v[140:143], v44 offset:6480
	v_add_f64 v[144:145], v[72:73], -v[78:79]
	v_add_f64 v[150:151], v[68:69], -v[116:117]
	v_fma_f64 v[66:67], v[146:147], s[18:19], v[58:59]
	v_add_f64 v[146:147], v[74:75], -v[76:77]
	v_fma_f64 v[56:57], v[60:61], s[20:21], v[62:63]
	;; [unrolled: 2-line block ×3, first 2 shown]
	v_fma_f64 v[52:53], v[60:61], s[20:21], v[64:65]
	v_add_f64 v[60:61], v[68:69], -v[70:71]
	v_add_f64 v[152:153], v[70:71], -v[114:115]
	v_fma_f64 v[54:55], v[54:55], s[20:21], v[66:67]
	v_add_f64 v[64:65], v[60:61], v[62:63]
	v_add_f64 v[60:61], v[72:73], -v[74:75]
	v_add_f64 v[62:63], v[78:79], -v[76:77]
	v_add_f64 v[66:67], v[60:61], v[62:63]
	v_add_f64 v[60:61], v[70:71], v[114:115]
	v_add_f64 v[62:63], v[74:75], v[76:77]
	s_waitcnt lgkmcnt(0)
	v_fma_f64 v[124:125], v[60:61], -0.5, v[140:141]
	v_fma_f64 v[148:149], v[62:63], -0.5, v[142:143]
	v_fma_f64 v[60:61], v[144:145], s[16:17], v[124:125]
	v_fma_f64 v[62:63], v[150:151], s[22:23], v[148:149]
	;; [unrolled: 1-line block ×12, first 2 shown]
	v_add_f64 v[124:125], v[68:69], v[116:117]
	v_add_f64 v[148:149], v[72:73], v[78:79]
	v_fma_f64 v[124:125], v[124:125], -0.5, v[140:141]
	v_fma_f64 v[148:149], v[148:149], -0.5, v[142:143]
	v_add_f64 v[140:141], v[140:141], v[68:69]
	v_add_f64 v[142:143], v[142:143], v[72:73]
	v_add_f64 v[72:73], v[74:75], -v[72:73]
	v_fma_f64 v[156:157], v[146:147], s[22:23], v[124:125]
	v_fma_f64 v[124:125], v[146:147], s[16:17], v[124:125]
	v_add_f64 v[140:141], v[140:141], v[70:71]
	v_add_f64 v[68:69], v[142:143], v[74:75]
	v_add_f64 v[74:75], v[76:77], -v[78:79]
	v_add_f64 v[142:143], v[100:101], v[102:103]
	v_fma_f64 v[124:125], v[144:145], s[24:25], v[124:125]
	v_add_f64 v[70:71], v[140:141], v[114:115]
	v_add_f64 v[140:141], v[68:69], v[76:77]
	v_add_f64 v[114:115], v[114:115], -v[116:117]
	v_fma_f64 v[76:77], v[152:153], s[16:17], v[148:149]
	v_add_f64 v[74:75], v[72:73], v[74:75]
	v_add_f64 v[68:69], v[70:71], v[116:117]
	;; [unrolled: 1-line block ×3, first 2 shown]
	v_fma_f64 v[78:79], v[152:153], s[22:23], v[148:149]
	v_add_f64 v[114:115], v[154:155], v[114:115]
	v_fma_f64 v[116:117], v[144:145], s[18:19], v[156:157]
	v_fma_f64 v[72:73], v[150:151], s[24:25], v[76:77]
	v_add_f64 v[148:149], v[98:99], -v[106:107]
	v_add_f64 v[154:155], v[104:105], -v[112:113]
	;; [unrolled: 1-line block ×3, first 2 shown]
	v_fma_f64 v[140:141], v[150:151], s[18:19], v[78:79]
	v_add_f64 v[150:151], v[100:101], -v[102:103]
	v_fma_f64 v[76:77], v[114:115], s[20:21], v[116:117]
	v_fma_f64 v[78:79], v[74:75], s[20:21], v[72:73]
	v_fma_f64 v[72:73], v[114:115], s[20:21], v[124:125]
	v_add_f64 v[114:115], v[104:105], -v[108:109]
	v_add_f64 v[116:117], v[112:113], -v[110:111]
	v_fma_f64 v[74:75], v[74:75], s[20:21], v[140:141]
	v_add_f64 v[140:141], v[108:109], v[110:111]
	v_add_f64 v[124:125], v[114:115], v[116:117]
	v_add_f64 v[114:115], v[98:99], -v[100:101]
	v_add_f64 v[116:117], v[106:107], -v[102:103]
	v_add_f64 v[146:147], v[114:115], v[116:117]
	ds_read_b128 v[114:117], v44 offset:8640
	s_waitcnt lgkmcnt(0)
	v_fma_f64 v[144:145], v[140:141], -0.5, v[114:115]
	v_fma_f64 v[152:153], v[142:143], -0.5, v[116:117]
	v_fma_f64 v[140:141], v[148:149], s[16:17], v[144:145]
	v_fma_f64 v[142:143], v[154:155], s[22:23], v[152:153]
	;; [unrolled: 1-line block ×12, first 2 shown]
	v_add_f64 v[124:125], v[104:105], v[112:113]
	v_add_f64 v[152:153], v[98:99], v[106:107]
	v_fma_f64 v[124:125], v[124:125], -0.5, v[114:115]
	v_fma_f64 v[152:153], v[152:153], -0.5, v[116:117]
	v_add_f64 v[114:115], v[114:115], v[104:105]
	v_add_f64 v[116:117], v[116:117], v[98:99]
	v_add_f64 v[104:105], v[108:109], -v[104:105]
	v_add_f64 v[98:99], v[100:101], -v[98:99]
	v_fma_f64 v[158:159], v[150:151], s[22:23], v[124:125]
	v_fma_f64 v[124:125], v[150:151], s[16:17], v[124:125]
	v_add_f64 v[114:115], v[114:115], v[108:109]
	v_add_f64 v[108:109], v[116:117], v[100:101]
	v_add_f64 v[150:151], v[110:111], -v[112:113]
	v_add_f64 v[100:101], v[102:103], -v[106:107]
	v_add_f64 v[114:115], v[114:115], v[110:111]
	v_add_f64 v[116:117], v[108:109], v[102:103]
	v_fma_f64 v[102:103], v[156:157], s[16:17], v[152:153]
	v_add_f64 v[104:105], v[104:105], v[150:151]
	v_add_f64 v[150:151], v[82:83], v[84:85]
	;; [unrolled: 1-line block ×4, first 2 shown]
	v_fma_f64 v[106:107], v[156:157], s[22:23], v[152:153]
	v_fma_f64 v[112:113], v[148:149], s[18:19], v[158:159]
	;; [unrolled: 1-line block ×3, first 2 shown]
	v_add_f64 v[116:117], v[98:99], v[100:101]
	v_fma_f64 v[100:101], v[154:155], s[24:25], v[102:103]
	v_add_f64 v[124:125], v[92:93], v[94:95]
	v_add_f64 v[156:157], v[80:81], -v[86:87]
	v_add_f64 v[158:159], v[82:83], -v[84:85]
	v_fma_f64 v[106:107], v[154:155], s[18:19], v[106:107]
	v_fma_f64 v[98:99], v[104:105], s[20:21], v[112:113]
	;; [unrolled: 1-line block ×3, first 2 shown]
	v_add_f64 v[112:113], v[96:97], -v[94:95]
	v_add_f64 v[114:115], v[86:87], -v[84:85]
	v_fma_f64 v[100:101], v[116:117], s[20:21], v[100:101]
	v_fma_f64 v[104:105], v[116:117], s[20:21], v[106:107]
	v_add_f64 v[106:107], v[90:91], -v[92:93]
	v_add_f64 v[106:107], v[106:107], v[112:113]
	v_add_f64 v[112:113], v[80:81], -v[82:83]
	v_add_f64 v[116:117], v[112:113], v[114:115]
	ds_read_b128 v[112:115], v44 offset:10800
	s_waitcnt vmcnt(0) lgkmcnt(0)
	s_barrier
	v_fma_f64 v[124:125], v[124:125], -0.5, v[112:113]
	v_fma_f64 v[152:153], v[150:151], -0.5, v[114:115]
	v_fma_f64 v[148:149], v[156:157], s[16:17], v[124:125]
	v_fma_f64 v[150:151], v[160:161], s[22:23], v[152:153]
	;; [unrolled: 1-line block ×12, first 2 shown]
	v_add_f64 v[106:107], v[90:91], v[96:97]
	v_add_f64 v[116:117], v[80:81], v[86:87]
	v_add_f64 v[124:125], v[92:93], -v[90:91]
	v_fma_f64 v[106:107], v[106:107], -0.5, v[112:113]
	v_fma_f64 v[116:117], v[116:117], -0.5, v[114:115]
	v_add_f64 v[112:113], v[112:113], v[90:91]
	v_add_f64 v[114:115], v[114:115], v[80:81]
	v_add_f64 v[80:81], v[82:83], -v[80:81]
	v_fma_f64 v[164:165], v[158:159], s[22:23], v[106:107]
	v_fma_f64 v[106:107], v[158:159], s[16:17], v[106:107]
	v_add_f64 v[112:113], v[112:113], v[92:93]
	v_add_f64 v[90:91], v[114:115], v[82:83]
	v_add_f64 v[82:83], v[84:85], -v[86:87]
	v_fma_f64 v[106:107], v[156:157], s[24:25], v[106:107]
	v_add_f64 v[92:93], v[112:113], v[94:95]
	v_add_f64 v[112:113], v[90:91], v[84:85]
	v_add_f64 v[94:95], v[94:95], -v[96:97]
	v_fma_f64 v[84:85], v[162:163], s[16:17], v[116:117]
	v_add_f64 v[90:91], v[92:93], v[96:97]
	v_add_f64 v[92:93], v[112:113], v[86:87]
	v_fma_f64 v[86:87], v[162:163], s[22:23], v[116:117]
	v_add_f64 v[94:95], v[124:125], v[94:95]
	v_fma_f64 v[96:97], v[156:157], s[18:19], v[164:165]
	;; [unrolled: 2-line block ×3, first 2 shown]
	v_fma_f64 v[86:87], v[160:161], s[18:19], v[86:87]
	v_fma_f64 v[84:85], v[94:95], s[20:21], v[106:107]
	;; [unrolled: 1-line block ×3, first 2 shown]
	v_mul_u32_u24_e32 v94, 50, v128
	v_add_lshl_u32 v239, v94, v129, 4
	ds_write_b128 v239, v[8:11]
	ds_write_b128 v239, v[0:3] offset:160
	ds_write_b128 v239, v[16:19] offset:320
	;; [unrolled: 1-line block ×4, first 2 shown]
	v_mad_legacy_u16 v0, v130, 50, v131
	v_lshlrev_b32_e32 v0, 4, v0
	buffer_store_dword v0, off, s[40:43], 0 offset:1588 ; 4-byte Folded Spill
	ds_write_b128 v0, v[28:31]
	ds_write_b128 v0, v[20:23] offset:160
	ds_write_b128 v0, v[36:39] offset:320
	;; [unrolled: 1-line block ×4, first 2 shown]
	v_mad_legacy_u16 v0, v132, 50, v133
	v_lshlrev_b32_e32 v0, 4, v0
	v_fma_f64 v[82:83], v[112:113], s[20:21], v[82:83]
	buffer_store_dword v0, off, s[40:43], 0 offset:1360 ; 4-byte Folded Spill
	ds_write_b128 v0, v[48:51]
	ds_write_b128 v0, v[40:43] offset:160
	ds_write_b128 v0, v[56:59] offset:320
	ds_write_b128 v0, v[52:55] offset:480
	ds_write_b128 v0, v[118:121] offset:640
	v_mad_legacy_u16 v0, v134, 50, v135
	v_fma_f64 v[86:87], v[112:113], s[20:21], v[86:87]
	v_lshlrev_b32_e32 v0, 4, v0
	buffer_store_dword v0, off, s[40:43], 0 offset:1148 ; 4-byte Folded Spill
	ds_write_b128 v0, v[68:71]
	ds_write_b128 v0, v[60:63] offset:160
	ds_write_b128 v0, v[76:79] offset:320
	;; [unrolled: 1-line block ×4, first 2 shown]
	v_mad_legacy_u16 v0, v136, 50, v137
	v_lshlrev_b32_e32 v0, 4, v0
	buffer_store_dword v0, off, s[40:43], 0 offset:848 ; 4-byte Folded Spill
	ds_write_b128 v0, v[108:111]
	ds_write_b128 v0, v[140:143] offset:160
	ds_write_b128 v0, v[98:101] offset:320
	;; [unrolled: 1-line block ×4, first 2 shown]
	v_mad_legacy_u16 v0, v138, 50, v139
	v_lshlrev_b32_e32 v0, 4, v0
	buffer_store_dword v0, off, s[40:43], 0 offset:604 ; 4-byte Folded Spill
	ds_write_b128 v0, v[90:93]
	ds_write_b128 v0, v[148:151] offset:160
	ds_write_b128 v0, v[80:83] offset:320
	;; [unrolled: 1-line block ×4, first 2 shown]
	v_mov_b32_e32 v0, 41
	v_mul_lo_u16_sdwa v0, v172, v0 dst_sel:DWORD dst_unused:UNUSED_PAD src0_sel:BYTE_0 src1_sel:DWORD
	v_lshrrev_b16_e32 v0, 11, v0
	v_mul_lo_u16_e32 v1, 50, v0
	v_sub_u16_e32 v1, v172, v1
	v_and_b32_e32 v1, 0xff, v1
	v_lshlrev_b32_e32 v8, 5, v1
	s_waitcnt vmcnt(0) lgkmcnt(0)
	s_barrier
	global_load_dwordx4 v[9:12], v8, s[14:15] offset:640
	s_waitcnt vmcnt(0)
	buffer_store_dword v9, off, s[40:43], 0 offset:608 ; 4-byte Folded Spill
	s_nop 0
	buffer_store_dword v10, off, s[40:43], 0 offset:612 ; 4-byte Folded Spill
	buffer_store_dword v11, off, s[40:43], 0 offset:616 ; 4-byte Folded Spill
	;; [unrolled: 1-line block ×3, first 2 shown]
	ds_read_b128 v[2:5], v44 offset:21600
	v_mul_u32_u24_e32 v0, 0x96, v0
	v_add_lshl_u32 v0, v0, v1, 4
	s_waitcnt lgkmcnt(0)
	v_mul_f64 v[6:7], v[4:5], v[11:12]
	v_fma_f64 v[37:38], v[2:3], v[9:10], -v[6:7]
	v_mul_f64 v[2:3], v[2:3], v[11:12]
	v_fma_f64 v[39:40], v[4:5], v[9:10], v[2:3]
	global_load_dwordx4 v[8:11], v8, s[14:15] offset:656
	s_waitcnt vmcnt(0)
	buffer_store_dword v8, off, s[40:43], 0 offset:624 ; 4-byte Folded Spill
	s_nop 0
	buffer_store_dword v9, off, s[40:43], 0 offset:628 ; 4-byte Folded Spill
	buffer_store_dword v10, off, s[40:43], 0 offset:632 ; 4-byte Folded Spill
	;; [unrolled: 1-line block ×3, first 2 shown]
	ds_read_b128 v[2:5], v44 offset:43200
	s_waitcnt lgkmcnt(0)
	v_mul_f64 v[6:7], v[4:5], v[10:11]
	v_fma_f64 v[41:42], v[2:3], v[8:9], -v[6:7]
	v_mul_f64 v[2:3], v[2:3], v[10:11]
	v_fma_f64 v[48:49], v[4:5], v[8:9], v[2:3]
	v_lshrrev_b16_e32 v2, 1, v127
	v_mul_u32_u24_e32 v2, 0x147b, v2
	v_lshrrev_b32_e32 v15, 17, v2
	v_mul_lo_u16_e32 v2, 50, v15
	v_sub_u16_e32 v16, v127, v2
	v_lshlrev_b16_e32 v2, 5, v16
	v_add_co_u32_e64 v7, s[2:3], s14, v2
	v_mov_b32_e32 v2, s15
	v_addc_co_u32_e64 v8, s[2:3], 0, v2, s[2:3]
	global_load_dwordx4 v[11:14], v[7:8], off offset:640
	ds_read_b128 v[3:6], v44 offset:23760
	s_waitcnt vmcnt(0) lgkmcnt(0)
	v_mul_f64 v[9:10], v[5:6], v[13:14]
	v_fma_f64 v[56:57], v[3:4], v[11:12], -v[9:10]
	buffer_store_dword v11, off, s[40:43], 0 offset:656 ; 4-byte Folded Spill
	s_nop 0
	buffer_store_dword v12, off, s[40:43], 0 offset:660 ; 4-byte Folded Spill
	buffer_store_dword v13, off, s[40:43], 0 offset:664 ; 4-byte Folded Spill
	;; [unrolled: 1-line block ×3, first 2 shown]
	v_mul_f64 v[3:4], v[3:4], v[13:14]
	v_fma_f64 v[58:59], v[5:6], v[11:12], v[3:4]
	global_load_dwordx4 v[9:12], v[7:8], off offset:656
	s_waitcnt vmcnt(0)
	buffer_store_dword v9, off, s[40:43], 0 offset:688 ; 4-byte Folded Spill
	s_nop 0
	buffer_store_dword v10, off, s[40:43], 0 offset:692 ; 4-byte Folded Spill
	buffer_store_dword v11, off, s[40:43], 0 offset:696 ; 4-byte Folded Spill
	;; [unrolled: 1-line block ×3, first 2 shown]
	ds_read_b128 v[3:6], v44 offset:45360
	s_waitcnt lgkmcnt(0)
	v_mul_f64 v[7:8], v[5:6], v[11:12]
	v_fma_f64 v[60:61], v[3:4], v[9:10], -v[7:8]
	v_mul_f64 v[3:4], v[3:4], v[11:12]
	v_lshrrev_b16_e32 v7, 1, v126
	v_fma_f64 v[62:63], v[5:6], v[9:10], v[3:4]
	v_mul_u32_u24_e32 v3, 0x147b, v7
	v_lshrrev_b32_e32 v17, 17, v3
	v_mul_lo_u16_e32 v3, 50, v17
	v_sub_u16_e32 v18, v126, v3
	v_lshlrev_b16_e32 v3, 5, v18
	v_add_co_u32_e64 v8, s[2:3], s14, v3
	v_addc_co_u32_e64 v9, s[2:3], 0, v2, s[2:3]
	global_load_dwordx4 v[19:22], v[8:9], off offset:640
	ds_read_b128 v[3:6], v44 offset:25920
	s_waitcnt vmcnt(0) lgkmcnt(0)
	v_mul_f64 v[10:11], v[5:6], v[21:22]
	v_fma_f64 v[68:69], v[3:4], v[19:20], -v[10:11]
	buffer_store_dword v19, off, s[40:43], 0 offset:752 ; 4-byte Folded Spill
	s_nop 0
	buffer_store_dword v20, off, s[40:43], 0 offset:756 ; 4-byte Folded Spill
	buffer_store_dword v21, off, s[40:43], 0 offset:760 ; 4-byte Folded Spill
	;; [unrolled: 1-line block ×3, first 2 shown]
	global_load_dwordx4 v[10:13], v[8:9], off offset:656
	s_waitcnt vmcnt(0)
	buffer_store_dword v10, off, s[40:43], 0 offset:768 ; 4-byte Folded Spill
	s_nop 0
	buffer_store_dword v11, off, s[40:43], 0 offset:772 ; 4-byte Folded Spill
	buffer_store_dword v12, off, s[40:43], 0 offset:776 ; 4-byte Folded Spill
	;; [unrolled: 1-line block ×3, first 2 shown]
	v_mul_f64 v[3:4], v[3:4], v[21:22]
	v_fma_f64 v[70:71], v[5:6], v[19:20], v[3:4]
	ds_read_b128 v[3:6], v44 offset:47520
	s_waitcnt lgkmcnt(0)
	v_mul_f64 v[8:9], v[5:6], v[12:13]
	v_fma_f64 v[72:73], v[3:4], v[10:11], -v[8:9]
	v_mul_f64 v[3:4], v[3:4], v[12:13]
	v_lshrrev_b16_e32 v8, 1, v47
	v_fma_f64 v[74:75], v[5:6], v[10:11], v[3:4]
	v_mul_u32_u24_e32 v3, 0x147b, v8
	v_lshrrev_b32_e32 v19, 17, v3
	v_mul_lo_u16_e32 v3, 50, v19
	v_sub_u16_e32 v20, v47, v3
	v_lshlrev_b16_e32 v3, 5, v20
	v_add_co_u32_e64 v9, s[2:3], s14, v3
	v_addc_co_u32_e64 v10, s[2:3], 0, v2, s[2:3]
	global_load_dwordx4 v[21:24], v[9:10], off offset:640
	s_waitcnt vmcnt(0)
	buffer_store_dword v21, off, s[40:43], 0 offset:852 ; 4-byte Folded Spill
	s_nop 0
	buffer_store_dword v22, off, s[40:43], 0 offset:856 ; 4-byte Folded Spill
	buffer_store_dword v23, off, s[40:43], 0 offset:860 ; 4-byte Folded Spill
	;; [unrolled: 1-line block ×3, first 2 shown]
	ds_read_b128 v[3:6], v44 offset:28080
	v_add_f64 v[76:77], v[70:71], v[74:75]
	v_mul_u32_u24_e32 v8, 0xda75, v8
	v_lshrrev_b32_e32 v8, 22, v8
	s_waitcnt lgkmcnt(0)
	v_mul_f64 v[11:12], v[5:6], v[23:24]
	v_fma_f64 v[80:81], v[3:4], v[21:22], -v[11:12]
	global_load_dwordx4 v[11:14], v[9:10], off offset:656
	s_waitcnt vmcnt(0)
	buffer_store_dword v11, off, s[40:43], 0 offset:868 ; 4-byte Folded Spill
	s_nop 0
	buffer_store_dword v12, off, s[40:43], 0 offset:872 ; 4-byte Folded Spill
	buffer_store_dword v13, off, s[40:43], 0 offset:876 ; 4-byte Folded Spill
	;; [unrolled: 1-line block ×3, first 2 shown]
	v_mul_f64 v[3:4], v[3:4], v[23:24]
	v_fma_f64 v[82:83], v[5:6], v[21:22], v[3:4]
	ds_read_b128 v[3:6], v44 offset:49680
	s_waitcnt lgkmcnt(0)
	v_mul_f64 v[9:10], v[5:6], v[13:14]
	v_fma_f64 v[84:85], v[3:4], v[11:12], -v[9:10]
	v_mul_f64 v[3:4], v[3:4], v[13:14]
	v_lshrrev_b16_e32 v9, 1, v122
	v_fma_f64 v[86:87], v[5:6], v[11:12], v[3:4]
	v_mul_u32_u24_e32 v3, 0x147b, v9
	v_lshrrev_b32_e32 v21, 17, v3
	v_mul_lo_u16_e32 v3, 50, v21
	v_sub_u16_e32 v22, v122, v3
	v_lshlrev_b16_e32 v3, 5, v22
	v_add_co_u32_e64 v10, s[2:3], s14, v3
	v_addc_co_u32_e64 v11, s[2:3], 0, v2, s[2:3]
	global_load_dwordx4 v[23:26], v[10:11], off offset:640
	ds_read_b128 v[3:6], v44 offset:30240
	v_add_f64 v[90:91], v[82:83], v[86:87]
	v_mul_u32_u24_e32 v9, 0xda75, v9
	v_lshrrev_b32_e32 v9, 22, v9
	s_waitcnt vmcnt(0) lgkmcnt(0)
	v_mul_f64 v[12:13], v[5:6], v[25:26]
	v_fma_f64 v[94:95], v[3:4], v[23:24], -v[12:13]
	buffer_store_dword v23, off, s[40:43], 0 offset:884 ; 4-byte Folded Spill
	s_nop 0
	buffer_store_dword v24, off, s[40:43], 0 offset:888 ; 4-byte Folded Spill
	buffer_store_dword v25, off, s[40:43], 0 offset:892 ; 4-byte Folded Spill
	buffer_store_dword v26, off, s[40:43], 0 offset:896 ; 4-byte Folded Spill
	v_mul_f64 v[3:4], v[3:4], v[25:26]
	v_fma_f64 v[96:97], v[5:6], v[23:24], v[3:4]
	global_load_dwordx4 v[23:26], v[10:11], off offset:656
	s_waitcnt vmcnt(0)
	buffer_store_dword v23, off, s[40:43], 0 offset:900 ; 4-byte Folded Spill
	s_nop 0
	buffer_store_dword v24, off, s[40:43], 0 offset:904 ; 4-byte Folded Spill
	buffer_store_dword v25, off, s[40:43], 0 offset:908 ; 4-byte Folded Spill
	;; [unrolled: 1-line block ×3, first 2 shown]
	ds_read_b128 v[3:6], v44 offset:51840
	s_waitcnt lgkmcnt(0)
	v_mul_f64 v[10:11], v[5:6], v[25:26]
	v_fma_f64 v[98:99], v[3:4], v[23:24], -v[10:11]
	v_mul_f64 v[3:4], v[3:4], v[25:26]
	v_lshrrev_b16_e32 v10, 1, v123
	v_fma_f64 v[100:101], v[5:6], v[23:24], v[3:4]
	v_mul_u32_u24_e32 v3, 0x147b, v10
	v_lshrrev_b32_e32 v23, 17, v3
	v_mul_lo_u16_e32 v3, 50, v23
	v_sub_u16_e32 v24, v123, v3
	v_lshlrev_b16_e32 v3, 5, v24
	v_add_co_u32_e64 v11, s[2:3], s14, v3
	v_addc_co_u32_e64 v12, s[2:3], 0, v2, s[2:3]
	global_load_dwordx4 v[25:28], v[11:12], off offset:640
	s_waitcnt vmcnt(0)
	buffer_store_dword v25, off, s[40:43], 0 offset:980 ; 4-byte Folded Spill
	s_nop 0
	buffer_store_dword v26, off, s[40:43], 0 offset:984 ; 4-byte Folded Spill
	buffer_store_dword v27, off, s[40:43], 0 offset:988 ; 4-byte Folded Spill
	buffer_store_dword v28, off, s[40:43], 0 offset:992 ; 4-byte Folded Spill
	ds_read_b128 v[3:6], v44 offset:32400
	s_movk_i32 s2, 0x32a
	v_add_f64 v[102:103], v[96:97], v[100:101]
	v_mul_u32_u24_e32 v10, 0xda75, v10
	v_lshrrev_b32_e32 v10, 22, v10
	s_waitcnt lgkmcnt(0)
	v_mul_f64 v[13:14], v[5:6], v[27:28]
	v_fma_f64 v[106:107], v[3:4], v[25:26], -v[13:14]
	v_mul_f64 v[3:4], v[3:4], v[27:28]
	v_fma_f64 v[108:109], v[5:6], v[25:26], v[3:4]
	global_load_dwordx4 v[25:28], v[11:12], off offset:656
	s_waitcnt vmcnt(0)
	buffer_store_dword v25, off, s[40:43], 0 offset:996 ; 4-byte Folded Spill
	s_nop 0
	buffer_store_dword v26, off, s[40:43], 0 offset:1000 ; 4-byte Folded Spill
	buffer_store_dword v27, off, s[40:43], 0 offset:1004 ; 4-byte Folded Spill
	buffer_store_dword v28, off, s[40:43], 0 offset:1008 ; 4-byte Folded Spill
	ds_read_b128 v[3:6], v44 offset:54000
	s_waitcnt lgkmcnt(0)
	v_mul_f64 v[11:12], v[5:6], v[27:28]
	v_fma_f64 v[110:111], v[3:4], v[25:26], -v[11:12]
	v_mul_f64 v[3:4], v[3:4], v[27:28]
	v_fma_f64 v[112:113], v[5:6], v[25:26], v[3:4]
	v_add_co_u32_e64 v3, s[2:3], s2, v172
	v_lshrrev_b16_e32 v11, 1, v3
	v_mul_u32_u24_e32 v4, 0x147b, v11
	v_lshrrev_b32_e32 v25, 17, v4
	v_mul_lo_u16_e32 v4, 50, v25
	v_sub_u16_e32 v26, v3, v4
	v_lshlrev_b16_e32 v4, 5, v26
	v_add_co_u32_e64 v4, s[2:3], s14, v4
	v_addc_co_u32_e64 v5, s[2:3], 0, v2, s[2:3]
	global_load_dwordx4 v[31:34], v[4:5], off offset:640
	s_waitcnt vmcnt(0)
	buffer_store_dword v31, off, s[40:43], 0 offset:1048 ; 4-byte Folded Spill
	s_nop 0
	buffer_store_dword v32, off, s[40:43], 0 offset:1052 ; 4-byte Folded Spill
	buffer_store_dword v33, off, s[40:43], 0 offset:1056 ; 4-byte Folded Spill
	buffer_store_dword v34, off, s[40:43], 0 offset:1060 ; 4-byte Folded Spill
	ds_read_b128 v[27:30], v44 offset:34560
	s_movk_i32 s2, 0x3b1
	v_add_f64 v[114:115], v[108:109], v[112:113]
	v_mul_u32_u24_e32 v11, 0xda75, v11
	v_lshrrev_b32_e32 v11, 22, v11
	s_waitcnt lgkmcnt(0)
	v_mul_f64 v[12:13], v[29:30], v[33:34]
	v_fma_f64 v[118:119], v[27:28], v[31:32], -v[12:13]
	v_mul_f64 v[12:13], v[27:28], v[33:34]
	v_fma_f64 v[120:121], v[29:30], v[31:32], v[12:13]
	global_load_dwordx4 v[31:34], v[4:5], off offset:656
	s_waitcnt vmcnt(0)
	buffer_store_dword v31, off, s[40:43], 0 offset:1068 ; 4-byte Folded Spill
	s_nop 0
	buffer_store_dword v32, off, s[40:43], 0 offset:1072 ; 4-byte Folded Spill
	buffer_store_dword v33, off, s[40:43], 0 offset:1076 ; 4-byte Folded Spill
	buffer_store_dword v34, off, s[40:43], 0 offset:1080 ; 4-byte Folded Spill
	ds_read_b128 v[27:30], v44 offset:56160
	s_waitcnt lgkmcnt(0)
	v_mul_f64 v[4:5], v[29:30], v[33:34]
	v_fma_f64 v[124:125], v[27:28], v[31:32], -v[4:5]
	v_mul_f64 v[4:5], v[27:28], v[33:34]
	v_fma_f64 v[128:129], v[29:30], v[31:32], v[4:5]
	v_add_co_u32_e64 v4, s[2:3], s2, v172
	v_lshrrev_b16_e32 v12, 1, v4
	;; [unrolled: 39-line block ×3, first 2 shown]
	v_mul_u32_u24_e32 v6, 0x147b, v13
	v_lshrrev_b32_e32 v29, 17, v6
	v_mul_lo_u16_e32 v6, 50, v29
	v_sub_u16_e32 v30, v5, v6
	v_lshlrev_b16_e32 v6, 5, v30
	v_add_co_u32_e64 v35, s[2:3], s14, v6
	v_addc_co_u32_e64 v36, s[2:3], 0, v2, s[2:3]
	global_load_dwordx4 v[52:55], v[35:36], off offset:640
	ds_read_b128 v[31:34], v44 offset:38880
	s_movk_i32 s2, 0x4bf
	v_add_co_u32_e64 v6, s[2:3], s2, v172
	v_lshrrev_b16_e32 v14, 1, v6
	v_mul_u32_u24_e32 v13, 0xda75, v13
	v_lshrrev_b32_e32 v13, 22, v13
	s_waitcnt vmcnt(0) lgkmcnt(0)
	v_mul_f64 v[50:51], v[33:34], v[54:55]
	v_fma_f64 v[148:149], v[31:32], v[52:53], -v[50:51]
	buffer_store_dword v52, off, s[40:43], 0 offset:1256 ; 4-byte Folded Spill
	s_nop 0
	buffer_store_dword v53, off, s[40:43], 0 offset:1260 ; 4-byte Folded Spill
	buffer_store_dword v54, off, s[40:43], 0 offset:1264 ; 4-byte Folded Spill
	;; [unrolled: 1-line block ×3, first 2 shown]
	v_mul_f64 v[31:32], v[31:32], v[54:55]
	v_fma_f64 v[150:151], v[33:34], v[52:53], v[31:32]
	global_load_dwordx4 v[50:53], v[35:36], off offset:656
	s_waitcnt vmcnt(0)
	buffer_store_dword v50, off, s[40:43], 0 offset:1272 ; 4-byte Folded Spill
	s_nop 0
	buffer_store_dword v51, off, s[40:43], 0 offset:1276 ; 4-byte Folded Spill
	buffer_store_dword v52, off, s[40:43], 0 offset:1280 ; 4-byte Folded Spill
	;; [unrolled: 1-line block ×3, first 2 shown]
	ds_read_b128 v[31:34], v44 offset:60480
	s_waitcnt lgkmcnt(0)
	v_mul_f64 v[35:36], v[33:34], v[52:53]
	v_fma_f64 v[152:153], v[31:32], v[50:51], -v[35:36]
	v_mul_f64 v[31:32], v[31:32], v[52:53]
	v_fma_f64 v[154:155], v[33:34], v[50:51], v[31:32]
	v_mul_u32_u24_e32 v31, 0x147b, v14
	v_lshrrev_b32_e32 v31, 17, v31
	v_mul_lo_u16_e32 v32, 50, v31
	v_sub_u16_e32 v32, v6, v32
	v_lshlrev_b16_e32 v33, 5, v32
	v_add_co_u32_e64 v50, s[2:3], s14, v33
	v_addc_co_u32_e64 v51, s[2:3], 0, v2, s[2:3]
	global_load_dwordx4 v[64:67], v[50:51], off offset:640
	ds_read_b128 v[33:36], v44 offset:41040
	s_movk_i32 s2, 0x96
	v_mul_u32_u24_e32 v14, 0xda75, v14
	v_lshrrev_b32_e32 v14, 22, v14
	v_mul_lo_u16_e32 v14, 0x96, v14
	v_sub_u16_e32 v14, v6, v14
	s_waitcnt vmcnt(0) lgkmcnt(0)
	v_mul_f64 v[52:53], v[35:36], v[66:67]
	v_fma_f64 v[160:161], v[33:34], v[64:65], -v[52:53]
	buffer_store_dword v64, off, s[40:43], 0 offset:1324 ; 4-byte Folded Spill
	s_nop 0
	buffer_store_dword v65, off, s[40:43], 0 offset:1328 ; 4-byte Folded Spill
	buffer_store_dword v66, off, s[40:43], 0 offset:1332 ; 4-byte Folded Spill
	;; [unrolled: 1-line block ×3, first 2 shown]
	global_load_dwordx4 v[52:55], v[50:51], off offset:656
	s_waitcnt vmcnt(0)
	buffer_store_dword v52, off, s[40:43], 0 offset:1344 ; 4-byte Folded Spill
	s_nop 0
	buffer_store_dword v53, off, s[40:43], 0 offset:1348 ; 4-byte Folded Spill
	buffer_store_dword v54, off, s[40:43], 0 offset:1352 ; 4-byte Folded Spill
	;; [unrolled: 1-line block ×3, first 2 shown]
	v_mul_f64 v[33:34], v[33:34], v[66:67]
	ds_read_b128 v[132:135], v44 offset:15120
	ds_read_b128 v[144:147], v44 offset:17280
	;; [unrolled: 1-line block ×3, first 2 shown]
	buffer_store_dword v0, off, s[40:43], 0 offset:1548 ; 4-byte Folded Spill
	v_fma_f64 v[162:163], v[35:36], v[64:65], v[33:34]
	ds_read_b128 v[33:36], v44 offset:62640
	v_add_f64 v[64:65], v[58:59], v[62:63]
	s_waitcnt lgkmcnt(0)
	v_mul_f64 v[50:51], v[35:36], v[54:55]
	v_fma_f64 v[164:165], v[33:34], v[52:53], -v[50:51]
	v_mul_f64 v[33:34], v[33:34], v[54:55]
	v_add_f64 v[50:51], v[37:38], v[41:42]
	v_fma_f64 v[166:167], v[35:36], v[52:53], v[33:34]
	ds_read_b128 v[33:36], v44
	v_add_f64 v[52:53], v[39:40], v[48:49]
	s_waitcnt lgkmcnt(0)
	v_fma_f64 v[50:51], v[50:51], -0.5, v[33:34]
	v_add_f64 v[33:34], v[33:34], v[37:38]
	v_fma_f64 v[52:53], v[52:53], -0.5, v[35:36]
	v_add_f64 v[35:36], v[35:36], v[39:40]
	v_add_f64 v[39:40], v[39:40], -v[48:49]
	v_add_f64 v[33:34], v[33:34], v[41:42]
	v_add_f64 v[41:42], v[37:38], -v[41:42]
	v_add_f64 v[35:36], v[35:36], v[48:49]
	v_fma_f64 v[37:38], v[39:40], s[12:13], v[50:51]
	v_fma_f64 v[48:49], v[39:40], s[6:7], v[50:51]
	;; [unrolled: 1-line block ×4, first 2 shown]
	ds_read_b128 v[52:55], v44 offset:2160
	v_add_f64 v[41:42], v[56:57], v[60:61]
	s_waitcnt lgkmcnt(0)
	v_fma_f64 v[64:65], v[64:65], -0.5, v[54:55]
	v_add_f64 v[54:55], v[54:55], v[58:59]
	v_add_f64 v[58:59], v[58:59], -v[62:63]
	v_fma_f64 v[41:42], v[41:42], -0.5, v[52:53]
	v_add_f64 v[52:53], v[52:53], v[56:57]
	v_add_f64 v[54:55], v[54:55], v[62:63]
	v_add_f64 v[62:63], v[56:57], -v[60:61]
	v_fma_f64 v[56:57], v[58:59], s[12:13], v[41:42]
	v_add_f64 v[52:53], v[52:53], v[60:61]
	v_fma_f64 v[60:61], v[58:59], s[6:7], v[41:42]
	v_add_f64 v[41:42], v[68:69], v[72:73]
	v_fma_f64 v[58:59], v[62:63], s[6:7], v[64:65]
	v_fma_f64 v[62:63], v[62:63], s[12:13], v[64:65]
	ds_read_b128 v[64:67], v44 offset:4320
	s_waitcnt lgkmcnt(0)
	v_fma_f64 v[76:77], v[76:77], -0.5, v[66:67]
	v_add_f64 v[66:67], v[66:67], v[70:71]
	v_fma_f64 v[41:42], v[41:42], -0.5, v[64:65]
	v_add_f64 v[64:65], v[64:65], v[68:69]
	v_add_f64 v[70:71], v[70:71], -v[74:75]
	v_add_f64 v[66:67], v[66:67], v[74:75]
	v_add_f64 v[74:75], v[68:69], -v[72:73]
	v_add_f64 v[64:65], v[64:65], v[72:73]
	v_fma_f64 v[68:69], v[70:71], s[12:13], v[41:42]
	v_fma_f64 v[72:73], v[70:71], s[6:7], v[41:42]
	v_add_f64 v[41:42], v[80:81], v[84:85]
	v_fma_f64 v[70:71], v[74:75], s[6:7], v[76:77]
	v_fma_f64 v[74:75], v[74:75], s[12:13], v[76:77]
	ds_read_b128 v[76:79], v44 offset:6480
	s_waitcnt lgkmcnt(0)
	v_fma_f64 v[90:91], v[90:91], -0.5, v[78:79]
	v_add_f64 v[78:79], v[78:79], v[82:83]
	v_fma_f64 v[41:42], v[41:42], -0.5, v[76:77]
	v_add_f64 v[76:77], v[76:77], v[80:81]
	v_add_f64 v[82:83], v[82:83], -v[86:87]
	v_add_f64 v[78:79], v[78:79], v[86:87]
	v_add_f64 v[86:87], v[80:81], -v[84:85]
	v_add_f64 v[76:77], v[76:77], v[84:85]
	v_fma_f64 v[80:81], v[82:83], s[12:13], v[41:42]
	;; [unrolled: 15-line block ×4, first 2 shown]
	v_fma_f64 v[110:111], v[108:109], s[6:7], v[41:42]
	v_add_f64 v[41:42], v[118:119], v[124:125]
	v_fma_f64 v[108:109], v[112:113], s[6:7], v[114:115]
	v_fma_f64 v[112:113], v[112:113], s[12:13], v[114:115]
	ds_read_b128 v[114:117], v44 offset:12960
	s_waitcnt vmcnt(0) lgkmcnt(0)
	s_barrier
	ds_write_b128 v0, v[33:36]
	ds_write_b128 v0, v[37:40] offset:800
	ds_write_b128 v0, v[48:51] offset:1600
	v_fma_f64 v[41:42], v[41:42], -0.5, v[114:115]
	v_add_f64 v[114:115], v[114:115], v[118:119]
	v_fma_f64 v[130:131], v[130:131], -0.5, v[116:117]
	v_add_f64 v[116:117], v[116:117], v[120:121]
	v_add_f64 v[120:121], v[120:121], -v[128:129]
	v_mad_legacy_u16 v0, v15, s2, v16
	v_lshlrev_b32_e32 v0, 4, v0
	buffer_store_dword v0, off, s[40:43], 0 offset:1492 ; 4-byte Folded Spill
	ds_write_b128 v0, v[52:55]
	ds_write_b128 v0, v[56:59] offset:800
	ds_write_b128 v0, v[60:63] offset:1600
	v_add_f64 v[114:115], v[114:115], v[124:125]
	v_add_f64 v[124:125], v[118:119], -v[124:125]
	v_add_f64 v[116:117], v[116:117], v[128:129]
	v_fma_f64 v[118:119], v[120:121], s[12:13], v[41:42]
	v_fma_f64 v[128:129], v[120:121], s[6:7], v[41:42]
	v_add_f64 v[41:42], v[136:137], v[140:141]
	v_mad_legacy_u16 v0, v17, s2, v18
	v_lshlrev_b32_e32 v0, 4, v0
	buffer_store_dword v0, off, s[40:43], 0 offset:1436 ; 4-byte Folded Spill
	v_fma_f64 v[120:121], v[124:125], s[6:7], v[130:131]
	v_fma_f64 v[130:131], v[124:125], s[12:13], v[130:131]
	v_add_f64 v[124:125], v[138:139], v[142:143]
	ds_write_b128 v0, v[64:67]
	ds_write_b128 v0, v[68:71] offset:800
	ds_write_b128 v0, v[72:75] offset:1600
	v_fma_f64 v[41:42], v[41:42], -0.5, v[132:133]
	v_add_f64 v[132:133], v[132:133], v[136:137]
	v_mad_legacy_u16 v0, v19, s2, v20
	v_lshlrev_b32_e32 v0, 4, v0
	buffer_store_dword v0, off, s[40:43], 0 offset:1396 ; 4-byte Folded Spill
	ds_write_b128 v0, v[76:79]
	ds_write_b128 v0, v[80:83] offset:800
	ds_write_b128 v0, v[84:87] offset:1600
	v_fma_f64 v[124:125], v[124:125], -0.5, v[134:135]
	v_add_f64 v[134:135], v[134:135], v[138:139]
	v_add_f64 v[138:139], v[138:139], -v[142:143]
	v_add_f64 v[132:133], v[132:133], v[140:141]
	v_mad_legacy_u16 v0, v21, s2, v22
	v_lshlrev_b32_e32 v0, 4, v0
	buffer_store_dword v0, off, s[40:43], 0 offset:1340 ; 4-byte Folded Spill
	ds_write_b128 v0, v[90:93]
	ds_write_b128 v0, v[94:97] offset:800
	ds_write_b128 v0, v[98:101] offset:1600
	v_mad_legacy_u16 v0, v23, s2, v24
	v_add_f64 v[134:135], v[134:135], v[142:143]
	v_add_f64 v[142:143], v[136:137], -v[140:141]
	v_fma_f64 v[136:137], v[138:139], s[12:13], v[41:42]
	v_fma_f64 v[140:141], v[138:139], s[6:7], v[41:42]
	v_add_f64 v[41:42], v[148:149], v[152:153]
	v_lshlrev_b32_e32 v0, 4, v0
	buffer_store_dword v0, off, s[40:43], 0 offset:1288 ; 4-byte Folded Spill
	ds_write_b128 v0, v[102:105]
	ds_write_b128 v0, v[106:109] offset:800
	ds_write_b128 v0, v[110:113] offset:1600
	v_mad_legacy_u16 v0, v25, s2, v26
	v_fma_f64 v[138:139], v[142:143], s[6:7], v[124:125]
	v_fma_f64 v[142:143], v[142:143], s[12:13], v[124:125]
	v_add_f64 v[124:125], v[150:151], v[154:155]
	v_fma_f64 v[41:42], v[41:42], -0.5, v[144:145]
	v_add_f64 v[144:145], v[144:145], v[148:149]
	v_lshlrev_b32_e32 v0, 4, v0
	buffer_store_dword v0, off, s[40:43], 0 offset:1220 ; 4-byte Folded Spill
	ds_write_b128 v0, v[114:117]
	ds_write_b128 v0, v[118:121] offset:800
	ds_write_b128 v0, v[128:131] offset:1600
	v_mad_legacy_u16 v0, v27, s2, v28
	v_lshlrev_b32_e32 v0, 4, v0
	v_fma_f64 v[124:125], v[124:125], -0.5, v[146:147]
	v_add_f64 v[146:147], v[146:147], v[150:151]
	v_add_f64 v[150:151], v[150:151], -v[154:155]
	v_add_f64 v[144:145], v[144:145], v[152:153]
	buffer_store_dword v0, off, s[40:43], 0 offset:1152 ; 4-byte Folded Spill
	ds_write_b128 v0, v[132:135]
	ds_write_b128 v0, v[136:139] offset:800
	ds_write_b128 v0, v[140:143] offset:1600
	v_mad_legacy_u16 v0, v29, s2, v30
	v_lshlrev_b32_e32 v0, 4, v0
	buffer_store_dword v0, off, s[40:43], 0 offset:1064 ; 4-byte Folded Spill
	v_add_f64 v[146:147], v[146:147], v[154:155]
	v_add_f64 v[154:155], v[148:149], -v[152:153]
	v_fma_f64 v[148:149], v[150:151], s[12:13], v[41:42]
	v_fma_f64 v[152:153], v[150:151], s[6:7], v[41:42]
	v_add_f64 v[41:42], v[160:161], v[164:165]
	v_lshlrev_b32_e32 v15, 5, v172
	v_fma_f64 v[150:151], v[154:155], s[6:7], v[124:125]
	v_fma_f64 v[154:155], v[154:155], s[12:13], v[124:125]
	v_add_f64 v[124:125], v[162:163], v[166:167]
	v_fma_f64 v[41:42], v[41:42], -0.5, v[156:157]
	v_add_f64 v[156:157], v[156:157], v[160:161]
	ds_write_b128 v0, v[144:147]
	ds_write_b128 v0, v[148:151] offset:800
	ds_write_b128 v0, v[152:155] offset:1600
	v_mad_legacy_u16 v0, v31, s2, v32
	v_lshlrev_b32_e32 v0, 4, v0
	v_fma_f64 v[124:125], v[124:125], -0.5, v[158:159]
	v_add_f64 v[158:159], v[158:159], v[162:163]
	v_add_f64 v[162:163], v[162:163], -v[166:167]
	v_add_f64 v[156:157], v[156:157], v[164:165]
	buffer_store_dword v0, off, s[40:43], 0 offset:1012 ; 4-byte Folded Spill
	v_cmp_gt_u16_e64 s[2:3], 15, v172
	v_add_f64 v[158:159], v[158:159], v[166:167]
	v_add_f64 v[166:167], v[160:161], -v[164:165]
	v_fma_f64 v[160:161], v[162:163], s[12:13], v[41:42]
	v_fma_f64 v[164:165], v[162:163], s[6:7], v[41:42]
	;; [unrolled: 1-line block ×4, first 2 shown]
	ds_write_b128 v0, v[156:159]
	ds_write_b128 v0, v[160:163] offset:800
	ds_write_b128 v0, v[164:167] offset:1600
	s_waitcnt vmcnt(0) lgkmcnt(0)
	s_barrier
	global_load_dwordx4 v[20:23], v15, s[14:15] offset:2240
	s_waitcnt vmcnt(0)
	buffer_store_dword v20, off, s[40:43], 0 offset:1016 ; 4-byte Folded Spill
	s_nop 0
	buffer_store_dword v21, off, s[40:43], 0 offset:1020 ; 4-byte Folded Spill
	buffer_store_dword v22, off, s[40:43], 0 offset:1024 ; 4-byte Folded Spill
	;; [unrolled: 1-line block ×3, first 2 shown]
	ds_read_b128 v[16:19], v44 offset:21600
	s_waitcnt lgkmcnt(0)
	v_mul_f64 v[0:1], v[18:19], v[22:23]
	v_fma_f64 v[26:27], v[16:17], v[20:21], -v[0:1]
	v_mul_f64 v[0:1], v[16:17], v[22:23]
	v_fma_f64 v[28:29], v[18:19], v[20:21], v[0:1]
	global_load_dwordx4 v[20:23], v15, s[14:15] offset:2256
	s_waitcnt vmcnt(0)
	buffer_store_dword v20, off, s[40:43], 0 offset:1032 ; 4-byte Folded Spill
	s_nop 0
	buffer_store_dword v21, off, s[40:43], 0 offset:1036 ; 4-byte Folded Spill
	buffer_store_dword v22, off, s[40:43], 0 offset:1040 ; 4-byte Folded Spill
	;; [unrolled: 1-line block ×3, first 2 shown]
	ds_read_b128 v[16:19], v44 offset:43200
	s_movk_i32 s15, 0xffd3
	s_waitcnt lgkmcnt(0)
	v_mul_f64 v[0:1], v[18:19], v[22:23]
	v_fma_f64 v[30:31], v[16:17], v[20:21], -v[0:1]
	v_mul_f64 v[0:1], v[16:17], v[22:23]
	v_fma_f64 v[32:33], v[18:19], v[20:21], v[0:1]
	v_addc_co_u32_e64 v0, s[0:1], 0, 0, s[0:1]
	v_add_co_u32_e64 v16, s[0:1], -15, v172
	v_addc_co_u32_e64 v1, s[0:1], 0, -1, s[0:1]
	v_cndmask_b32_e64 v1, v1, v0, s[2:3]
	v_cndmask_b32_e64 v0, v16, v127, s[2:3]
	v_lshlrev_b64 v[16:17], 5, v[0:1]
	v_mul_u32_u24_e32 v1, 0xda75, v7
	v_add_co_u32_e64 v20, s[0:1], s14, v16
	v_addc_co_u32_e64 v21, s[0:1], v2, v17, s[0:1]
	global_load_dwordx4 v[34:37], v[20:21], off offset:2240
	ds_read_b128 v[16:19], v44 offset:23760
	v_lshrrev_b32_e32 v1, 22, v1
	v_mul_lo_u16_e32 v7, 0x96, v1
	v_sub_u16_e32 v7, v126, v7
	s_movk_i32 s2, 0x1c2
	s_movk_i32 s3, 0x1b80
	s_waitcnt vmcnt(0) lgkmcnt(0)
	v_mul_f64 v[22:23], v[18:19], v[36:37]
	v_fma_f64 v[38:39], v[16:17], v[34:35], -v[22:23]
	buffer_store_dword v34, off, s[40:43], 0 offset:1156 ; 4-byte Folded Spill
	s_nop 0
	buffer_store_dword v35, off, s[40:43], 0 offset:1160 ; 4-byte Folded Spill
	buffer_store_dword v36, off, s[40:43], 0 offset:1164 ; 4-byte Folded Spill
	;; [unrolled: 1-line block ×3, first 2 shown]
	global_load_dwordx4 v[22:25], v[20:21], off offset:2256
	s_waitcnt vmcnt(0)
	buffer_store_dword v22, off, s[40:43], 0 offset:1188 ; 4-byte Folded Spill
	s_nop 0
	buffer_store_dword v23, off, s[40:43], 0 offset:1192 ; 4-byte Folded Spill
	buffer_store_dword v24, off, s[40:43], 0 offset:1196 ; 4-byte Folded Spill
	;; [unrolled: 1-line block ×3, first 2 shown]
	v_mul_f64 v[16:17], v[16:17], v[36:37]
	v_fma_f64 v[40:41], v[18:19], v[34:35], v[16:17]
	ds_read_b128 v[16:19], v44 offset:45360
	s_waitcnt lgkmcnt(0)
	v_mul_f64 v[20:21], v[18:19], v[24:25]
	v_fma_f64 v[42:43], v[16:17], v[22:23], -v[20:21]
	v_mul_f64 v[16:17], v[16:17], v[24:25]
	v_fma_f64 v[48:49], v[18:19], v[22:23], v[16:17]
	v_lshlrev_b16_e32 v16, 5, v7
	v_add_co_u32_e64 v20, s[0:1], s14, v16
	v_addc_co_u32_e64 v21, s[0:1], 0, v2, s[0:1]
	global_load_dwordx4 v[34:37], v[20:21], off offset:2240
	ds_read_b128 v[16:19], v44 offset:25920
	s_waitcnt vmcnt(0) lgkmcnt(0)
	v_mul_f64 v[22:23], v[18:19], v[36:37]
	v_fma_f64 v[56:57], v[16:17], v[34:35], -v[22:23]
	buffer_store_dword v34, off, s[40:43], 0 offset:1224 ; 4-byte Folded Spill
	s_nop 0
	buffer_store_dword v35, off, s[40:43], 0 offset:1228 ; 4-byte Folded Spill
	buffer_store_dword v36, off, s[40:43], 0 offset:1232 ; 4-byte Folded Spill
	;; [unrolled: 1-line block ×3, first 2 shown]
	global_load_dwordx4 v[22:25], v[20:21], off offset:2256
	s_waitcnt vmcnt(0)
	buffer_store_dword v22, off, s[40:43], 0 offset:1240 ; 4-byte Folded Spill
	s_nop 0
	buffer_store_dword v23, off, s[40:43], 0 offset:1244 ; 4-byte Folded Spill
	buffer_store_dword v24, off, s[40:43], 0 offset:1248 ; 4-byte Folded Spill
	;; [unrolled: 1-line block ×3, first 2 shown]
	v_mul_f64 v[16:17], v[16:17], v[36:37]
	v_fma_f64 v[58:59], v[18:19], v[34:35], v[16:17]
	ds_read_b128 v[16:19], v44 offset:47520
	s_waitcnt lgkmcnt(0)
	v_mul_f64 v[20:21], v[18:19], v[24:25]
	v_fma_f64 v[60:61], v[16:17], v[22:23], -v[20:21]
	v_mul_f64 v[16:17], v[16:17], v[24:25]
	v_fma_f64 v[62:63], v[18:19], v[22:23], v[16:17]
	v_mul_lo_u16_e32 v16, 0x96, v8
	v_sub_u16_e32 v16, v47, v16
	v_lshlrev_b16_e32 v17, 5, v16
	v_add_co_u32_e64 v21, s[0:1], s14, v17
	v_addc_co_u32_e64 v22, s[0:1], 0, v2, s[0:1]
	global_load_dwordx4 v[34:37], v[21:22], off offset:2240
	s_waitcnt vmcnt(0)
	buffer_store_dword v34, off, s[40:43], 0 offset:1292 ; 4-byte Folded Spill
	s_nop 0
	buffer_store_dword v35, off, s[40:43], 0 offset:1296 ; 4-byte Folded Spill
	buffer_store_dword v36, off, s[40:43], 0 offset:1300 ; 4-byte Folded Spill
	;; [unrolled: 1-line block ×3, first 2 shown]
	ds_read_b128 v[17:20], v44 offset:28080
	v_add_f64 v[64:65], v[58:59], v[62:63]
	s_waitcnt lgkmcnt(0)
	v_mul_f64 v[23:24], v[19:20], v[36:37]
	v_fma_f64 v[68:69], v[17:18], v[34:35], -v[23:24]
	v_mul_f64 v[17:18], v[17:18], v[36:37]
	v_fma_f64 v[70:71], v[19:20], v[34:35], v[17:18]
	global_load_dwordx4 v[34:37], v[21:22], off offset:2256
	s_waitcnt vmcnt(0)
	buffer_store_dword v34, off, s[40:43], 0 offset:1308 ; 4-byte Folded Spill
	s_nop 0
	buffer_store_dword v35, off, s[40:43], 0 offset:1312 ; 4-byte Folded Spill
	buffer_store_dword v36, off, s[40:43], 0 offset:1316 ; 4-byte Folded Spill
	;; [unrolled: 1-line block ×3, first 2 shown]
	ds_read_b128 v[17:20], v44 offset:49680
	s_waitcnt lgkmcnt(0)
	v_mul_f64 v[21:22], v[19:20], v[36:37]
	v_fma_f64 v[72:73], v[17:18], v[34:35], -v[21:22]
	v_mul_f64 v[17:18], v[17:18], v[36:37]
	v_fma_f64 v[74:75], v[19:20], v[34:35], v[17:18]
	v_mul_lo_u16_e32 v17, 0x96, v9
	v_sub_u16_e32 v17, v122, v17
	v_lshlrev_b16_e32 v18, 5, v17
	v_add_co_u32_e64 v22, s[0:1], s14, v18
	v_addc_co_u32_e64 v23, s[0:1], 0, v2, s[0:1]
	global_load_dwordx4 v[34:37], v[22:23], off offset:2240
	ds_read_b128 v[18:21], v44 offset:30240
	v_add_f64 v[76:77], v[70:71], v[74:75]
	s_waitcnt vmcnt(0) lgkmcnt(0)
	v_mul_f64 v[24:25], v[20:21], v[36:37]
	v_fma_f64 v[80:81], v[18:19], v[34:35], -v[24:25]
	buffer_store_dword v34, off, s[40:43], 0 offset:1364 ; 4-byte Folded Spill
	s_nop 0
	buffer_store_dword v35, off, s[40:43], 0 offset:1368 ; 4-byte Folded Spill
	buffer_store_dword v36, off, s[40:43], 0 offset:1372 ; 4-byte Folded Spill
	;; [unrolled: 1-line block ×3, first 2 shown]
	v_mul_f64 v[18:19], v[18:19], v[36:37]
	v_fma_f64 v[82:83], v[20:21], v[34:35], v[18:19]
	global_load_dwordx4 v[34:37], v[22:23], off offset:2256
	s_waitcnt vmcnt(0)
	buffer_store_dword v34, off, s[40:43], 0 offset:1380 ; 4-byte Folded Spill
	s_nop 0
	buffer_store_dword v35, off, s[40:43], 0 offset:1384 ; 4-byte Folded Spill
	buffer_store_dword v36, off, s[40:43], 0 offset:1388 ; 4-byte Folded Spill
	;; [unrolled: 1-line block ×3, first 2 shown]
	ds_read_b128 v[18:21], v44 offset:51840
	s_waitcnt lgkmcnt(0)
	v_mul_f64 v[22:23], v[20:21], v[36:37]
	v_fma_f64 v[84:85], v[18:19], v[34:35], -v[22:23]
	v_mul_f64 v[18:19], v[18:19], v[36:37]
	v_fma_f64 v[86:87], v[20:21], v[34:35], v[18:19]
	v_mul_lo_u16_e32 v18, 0x96, v10
	v_sub_u16_e32 v18, v123, v18
	v_lshlrev_b16_e32 v19, 5, v18
	v_add_co_u32_e64 v23, s[0:1], s14, v19
	v_addc_co_u32_e64 v24, s[0:1], 0, v2, s[0:1]
	global_load_dwordx4 v[50:53], v[23:24], off offset:2240
	ds_read_b128 v[19:22], v44 offset:32400
	v_add_f64 v[90:91], v[82:83], v[86:87]
	s_waitcnt vmcnt(0) lgkmcnt(0)
	v_mul_f64 v[34:35], v[21:22], v[52:53]
	v_fma_f64 v[94:95], v[19:20], v[50:51], -v[34:35]
	buffer_store_dword v50, off, s[40:43], 0 offset:1404 ; 4-byte Folded Spill
	s_nop 0
	buffer_store_dword v51, off, s[40:43], 0 offset:1408 ; 4-byte Folded Spill
	buffer_store_dword v52, off, s[40:43], 0 offset:1412 ; 4-byte Folded Spill
	;; [unrolled: 1-line block ×3, first 2 shown]
	global_load_dwordx4 v[34:37], v[23:24], off offset:2256
	s_waitcnt vmcnt(0)
	buffer_store_dword v34, off, s[40:43], 0 offset:1420 ; 4-byte Folded Spill
	s_nop 0
	buffer_store_dword v35, off, s[40:43], 0 offset:1424 ; 4-byte Folded Spill
	buffer_store_dword v36, off, s[40:43], 0 offset:1428 ; 4-byte Folded Spill
	;; [unrolled: 1-line block ×3, first 2 shown]
	v_mul_f64 v[19:20], v[19:20], v[52:53]
	v_fma_f64 v[96:97], v[21:22], v[50:51], v[19:20]
	ds_read_b128 v[19:22], v44 offset:54000
	s_waitcnt lgkmcnt(0)
	v_mul_f64 v[23:24], v[21:22], v[36:37]
	v_fma_f64 v[98:99], v[19:20], v[34:35], -v[23:24]
	v_mul_f64 v[19:20], v[19:20], v[36:37]
	v_fma_f64 v[100:101], v[21:22], v[34:35], v[19:20]
	v_mul_lo_u16_e32 v19, 0x96, v11
	v_sub_u16_e32 v19, v3, v19
	v_lshlrev_b16_e32 v20, 5, v19
	v_add_co_u32_e64 v24, s[0:1], s14, v20
	v_addc_co_u32_e64 v25, s[0:1], 0, v2, s[0:1]
	global_load_dwordx4 v[50:53], v[24:25], off offset:2240
	ds_read_b128 v[20:23], v44 offset:34560
	v_add_f64 v[102:103], v[96:97], v[100:101]
	s_waitcnt vmcnt(0) lgkmcnt(0)
	v_mul_f64 v[34:35], v[22:23], v[52:53]
	v_fma_f64 v[106:107], v[20:21], v[50:51], -v[34:35]
	buffer_store_dword v50, off, s[40:43], 0 offset:1476 ; 4-byte Folded Spill
	s_nop 0
	buffer_store_dword v51, off, s[40:43], 0 offset:1480 ; 4-byte Folded Spill
	buffer_store_dword v52, off, s[40:43], 0 offset:1484 ; 4-byte Folded Spill
	;; [unrolled: 1-line block ×3, first 2 shown]
	global_load_dwordx4 v[34:37], v[24:25], off offset:2256
	s_waitcnt vmcnt(0)
	buffer_store_dword v34, off, s[40:43], 0 offset:1496 ; 4-byte Folded Spill
	s_nop 0
	buffer_store_dword v35, off, s[40:43], 0 offset:1500 ; 4-byte Folded Spill
	buffer_store_dword v36, off, s[40:43], 0 offset:1504 ; 4-byte Folded Spill
	;; [unrolled: 1-line block ×3, first 2 shown]
	v_mul_f64 v[20:21], v[20:21], v[52:53]
	v_fma_f64 v[108:109], v[22:23], v[50:51], v[20:21]
	ds_read_b128 v[20:23], v44 offset:56160
	s_waitcnt lgkmcnt(0)
	v_mul_f64 v[24:25], v[22:23], v[36:37]
	v_fma_f64 v[110:111], v[20:21], v[34:35], -v[24:25]
	v_mul_f64 v[20:21], v[20:21], v[36:37]
	v_fma_f64 v[112:113], v[22:23], v[34:35], v[20:21]
	v_mul_lo_u16_e32 v20, 0x96, v12
	v_sub_u16_e32 v20, v4, v20
	v_lshlrev_b16_e32 v21, 5, v20
	v_add_co_u32_e64 v34, s[0:1], s14, v21
	v_addc_co_u32_e64 v35, s[0:1], 0, v2, s[0:1]
	global_load_dwordx4 v[50:53], v[34:35], off offset:2240
	s_waitcnt vmcnt(0)
	buffer_store_dword v50, off, s[40:43], 0 offset:1552 ; 4-byte Folded Spill
	s_nop 0
	buffer_store_dword v51, off, s[40:43], 0 offset:1556 ; 4-byte Folded Spill
	buffer_store_dword v52, off, s[40:43], 0 offset:1560 ; 4-byte Folded Spill
	;; [unrolled: 1-line block ×3, first 2 shown]
	ds_read_b128 v[21:24], v44 offset:36720
	v_add_f64 v[114:115], v[108:109], v[112:113]
	s_waitcnt lgkmcnt(0)
	v_mul_f64 v[36:37], v[23:24], v[52:53]
	v_fma_f64 v[118:119], v[21:22], v[50:51], -v[36:37]
	v_mul_f64 v[21:22], v[21:22], v[52:53]
	v_fma_f64 v[120:121], v[23:24], v[50:51], v[21:22]
	global_load_dwordx4 v[50:53], v[34:35], off offset:2256
	s_waitcnt vmcnt(0)
	buffer_store_dword v50, off, s[40:43], 0 offset:1568 ; 4-byte Folded Spill
	s_nop 0
	buffer_store_dword v51, off, s[40:43], 0 offset:1572 ; 4-byte Folded Spill
	buffer_store_dword v52, off, s[40:43], 0 offset:1576 ; 4-byte Folded Spill
	;; [unrolled: 1-line block ×3, first 2 shown]
	ds_read_b128 v[21:24], v44 offset:58320
	s_waitcnt lgkmcnt(0)
	v_mul_f64 v[34:35], v[23:24], v[52:53]
	v_fma_f64 v[124:125], v[21:22], v[50:51], -v[34:35]
	v_mul_f64 v[21:22], v[21:22], v[52:53]
	v_fma_f64 v[128:129], v[23:24], v[50:51], v[21:22]
	v_mul_lo_u16_e32 v21, 0x96, v13
	v_sub_u16_e32 v21, v5, v21
	v_lshlrev_b16_e32 v22, 5, v21
	v_add_co_u32_e64 v34, s[0:1], s14, v22
	v_addc_co_u32_e64 v35, s[0:1], 0, v2, s[0:1]
	global_load_dwordx4 v[50:53], v[34:35], off offset:2240
	ds_read_b128 v[22:25], v44 offset:38880
	v_add_f64 v[130:131], v[120:121], v[128:129]
	s_waitcnt vmcnt(0) lgkmcnt(0)
	v_mul_f64 v[36:37], v[24:25], v[52:53]
	v_fma_f64 v[136:137], v[22:23], v[50:51], -v[36:37]
	buffer_store_dword v50, off, s[40:43], 0 offset:1624 ; 4-byte Folded Spill
	s_nop 0
	buffer_store_dword v51, off, s[40:43], 0 offset:1628 ; 4-byte Folded Spill
	buffer_store_dword v52, off, s[40:43], 0 offset:1632 ; 4-byte Folded Spill
	buffer_store_dword v53, off, s[40:43], 0 offset:1636 ; 4-byte Folded Spill
	v_mul_f64 v[22:23], v[22:23], v[52:53]
	v_fma_f64 v[138:139], v[24:25], v[50:51], v[22:23]
	global_load_dwordx4 v[50:53], v[34:35], off offset:2256
	s_waitcnt vmcnt(0)
	buffer_store_dword v50, off, s[40:43], 0 offset:1644 ; 4-byte Folded Spill
	s_nop 0
	buffer_store_dword v51, off, s[40:43], 0 offset:1648 ; 4-byte Folded Spill
	buffer_store_dword v52, off, s[40:43], 0 offset:1652 ; 4-byte Folded Spill
	;; [unrolled: 1-line block ×3, first 2 shown]
	ds_read_b128 v[22:25], v44 offset:60480
	s_waitcnt lgkmcnt(0)
	v_mul_f64 v[34:35], v[24:25], v[52:53]
	v_fma_f64 v[140:141], v[22:23], v[50:51], -v[34:35]
	v_mul_f64 v[22:23], v[22:23], v[52:53]
	v_fma_f64 v[142:143], v[24:25], v[50:51], v[22:23]
	v_lshlrev_b16_e32 v22, 5, v14
	v_add_co_u32_e64 v34, s[0:1], s14, v22
	v_addc_co_u32_e64 v35, s[0:1], 0, v2, s[0:1]
	global_load_dwordx4 v[50:53], v[34:35], off offset:2240
	s_waitcnt vmcnt(0)
	buffer_store_dword v50, off, s[40:43], 0 offset:1664 ; 4-byte Folded Spill
	s_nop 0
	buffer_store_dword v51, off, s[40:43], 0 offset:1668 ; 4-byte Folded Spill
	buffer_store_dword v52, off, s[40:43], 0 offset:1672 ; 4-byte Folded Spill
	;; [unrolled: 1-line block ×3, first 2 shown]
	ds_read_b128 v[22:25], v44 offset:41040
	v_cmp_lt_u16_e64 s[0:1], 14, v172
	s_waitcnt lgkmcnt(0)
	v_mul_f64 v[36:37], v[24:25], v[52:53]
	v_fma_f64 v[148:149], v[22:23], v[50:51], -v[36:37]
	v_mul_f64 v[22:23], v[22:23], v[52:53]
	v_add_f64 v[36:37], v[28:29], v[32:33]
	v_fma_f64 v[150:151], v[24:25], v[50:51], v[22:23]
	global_load_dwordx4 v[50:53], v[34:35], off offset:2256
	s_waitcnt vmcnt(0)
	buffer_store_dword v50, off, s[40:43], 0 offset:1680 ; 4-byte Folded Spill
	s_nop 0
	buffer_store_dword v51, off, s[40:43], 0 offset:1684 ; 4-byte Folded Spill
	buffer_store_dword v52, off, s[40:43], 0 offset:1688 ; 4-byte Folded Spill
	;; [unrolled: 1-line block ×3, first 2 shown]
	ds_read_b128 v[22:25], v44 offset:62640
	ds_read_b128 v[132:135], v44 offset:17280
	;; [unrolled: 1-line block ×3, first 2 shown]
	s_waitcnt lgkmcnt(2)
	v_mul_f64 v[34:35], v[24:25], v[52:53]
	v_fma_f64 v[152:153], v[22:23], v[50:51], -v[34:35]
	v_mul_f64 v[22:23], v[22:23], v[52:53]
	v_add_f64 v[34:35], v[26:27], v[30:31]
	v_add_f64 v[52:53], v[40:41], v[48:49]
	v_fma_f64 v[154:155], v[24:25], v[50:51], v[22:23]
	ds_read_b128 v[22:25], v44
	v_add_f64 v[50:51], v[38:39], v[42:43]
	s_waitcnt lgkmcnt(0)
	v_fma_f64 v[36:37], v[36:37], -0.5, v[24:25]
	v_add_f64 v[24:25], v[24:25], v[28:29]
	v_fma_f64 v[34:35], v[34:35], -0.5, v[22:23]
	v_add_f64 v[22:23], v[22:23], v[26:27]
	v_add_f64 v[28:29], v[28:29], -v[32:33]
	v_add_f64 v[24:25], v[24:25], v[32:33]
	v_add_f64 v[32:33], v[26:27], -v[30:31]
	v_add_f64 v[22:23], v[22:23], v[30:31]
	v_fma_f64 v[26:27], v[28:29], s[12:13], v[34:35]
	v_fma_f64 v[30:31], v[28:29], s[6:7], v[34:35]
	;; [unrolled: 1-line block ×4, first 2 shown]
	ds_read_b128 v[34:37], v44 offset:2160
	s_waitcnt lgkmcnt(0)
	v_fma_f64 v[50:51], v[50:51], -0.5, v[34:35]
	v_add_f64 v[34:35], v[34:35], v[38:39]
	v_fma_f64 v[52:53], v[52:53], -0.5, v[36:37]
	v_add_f64 v[36:37], v[36:37], v[40:41]
	v_add_f64 v[40:41], v[40:41], -v[48:49]
	v_add_f64 v[34:35], v[34:35], v[42:43]
	v_add_f64 v[42:43], v[38:39], -v[42:43]
	v_add_f64 v[36:37], v[36:37], v[48:49]
	v_fma_f64 v[38:39], v[40:41], s[12:13], v[50:51]
	v_fma_f64 v[48:49], v[40:41], s[6:7], v[50:51]
	;; [unrolled: 1-line block ×4, first 2 shown]
	ds_read_b128 v[52:55], v44 offset:4320
	v_add_f64 v[42:43], v[56:57], v[60:61]
	s_waitcnt lgkmcnt(0)
	v_fma_f64 v[64:65], v[64:65], -0.5, v[54:55]
	v_add_f64 v[54:55], v[54:55], v[58:59]
	v_add_f64 v[58:59], v[58:59], -v[62:63]
	v_fma_f64 v[42:43], v[42:43], -0.5, v[52:53]
	v_add_f64 v[52:53], v[52:53], v[56:57]
	v_add_f64 v[54:55], v[54:55], v[62:63]
	v_add_f64 v[62:63], v[56:57], -v[60:61]
	v_fma_f64 v[56:57], v[58:59], s[12:13], v[42:43]
	v_add_f64 v[52:53], v[52:53], v[60:61]
	v_fma_f64 v[60:61], v[58:59], s[6:7], v[42:43]
	v_add_f64 v[42:43], v[68:69], v[72:73]
	v_fma_f64 v[58:59], v[62:63], s[6:7], v[64:65]
	v_fma_f64 v[62:63], v[62:63], s[12:13], v[64:65]
	ds_read_b128 v[64:67], v44 offset:6480
	s_waitcnt lgkmcnt(0)
	v_fma_f64 v[76:77], v[76:77], -0.5, v[66:67]
	v_add_f64 v[66:67], v[66:67], v[70:71]
	v_fma_f64 v[42:43], v[42:43], -0.5, v[64:65]
	v_add_f64 v[64:65], v[64:65], v[68:69]
	v_add_f64 v[70:71], v[70:71], -v[74:75]
	v_add_f64 v[66:67], v[66:67], v[74:75]
	v_add_f64 v[74:75], v[68:69], -v[72:73]
	v_add_f64 v[64:65], v[64:65], v[72:73]
	v_fma_f64 v[68:69], v[70:71], s[12:13], v[42:43]
	v_fma_f64 v[72:73], v[70:71], s[6:7], v[42:43]
	v_add_f64 v[42:43], v[80:81], v[84:85]
	v_fma_f64 v[70:71], v[74:75], s[6:7], v[76:77]
	v_fma_f64 v[74:75], v[74:75], s[12:13], v[76:77]
	ds_read_b128 v[76:79], v44 offset:8640
	s_waitcnt lgkmcnt(0)
	v_fma_f64 v[90:91], v[90:91], -0.5, v[78:79]
	v_add_f64 v[78:79], v[78:79], v[82:83]
	v_fma_f64 v[42:43], v[42:43], -0.5, v[76:77]
	v_add_f64 v[76:77], v[76:77], v[80:81]
	v_add_f64 v[82:83], v[82:83], -v[86:87]
	v_add_f64 v[78:79], v[78:79], v[86:87]
	v_add_f64 v[86:87], v[80:81], -v[84:85]
	v_add_f64 v[76:77], v[76:77], v[84:85]
	v_fma_f64 v[80:81], v[82:83], s[12:13], v[42:43]
	;; [unrolled: 15-line block ×4, first 2 shown]
	v_fma_f64 v[110:111], v[108:109], s[6:7], v[42:43]
	v_add_f64 v[42:43], v[118:119], v[124:125]
	v_fma_f64 v[108:109], v[112:113], s[6:7], v[114:115]
	v_fma_f64 v[112:113], v[112:113], s[12:13], v[114:115]
	ds_read_b128 v[114:117], v44 offset:15120
	s_waitcnt vmcnt(0) lgkmcnt(0)
	s_barrier
	ds_write_b128 v44, v[22:25]
	ds_write_b128 v44, v[26:29] offset:2400
	ds_write_b128 v44, v[30:33] offset:4800
	v_fma_f64 v[42:43], v[42:43], -0.5, v[114:115]
	v_add_f64 v[114:115], v[114:115], v[118:119]
	v_fma_f64 v[130:131], v[130:131], -0.5, v[116:117]
	v_add_f64 v[116:117], v[116:117], v[120:121]
	v_add_f64 v[120:121], v[120:121], -v[128:129]
	v_mov_b32_e32 v22, 0x1c2
	v_cndmask_b32_e64 v22, 0, v22, s[0:1]
	v_add_lshl_u32 v0, v0, v22, 4
	buffer_store_dword v0, off, s[40:43], 0 offset:1784 ; 4-byte Folded Spill
	v_add_f64 v[114:115], v[114:115], v[124:125]
	v_add_f64 v[124:125], v[118:119], -v[124:125]
	v_add_f64 v[116:117], v[116:117], v[128:129]
	v_fma_f64 v[118:119], v[120:121], s[12:13], v[42:43]
	v_fma_f64 v[128:129], v[120:121], s[6:7], v[42:43]
	v_add_f64 v[42:43], v[136:137], v[140:141]
	ds_write_b128 v0, v[34:37]
	ds_write_b128 v0, v[38:41] offset:2400
	ds_write_b128 v0, v[48:51] offset:4800
	v_mad_legacy_u16 v0, v1, s2, v7
	v_lshlrev_b32_e32 v0, 4, v0
	v_fma_f64 v[120:121], v[124:125], s[6:7], v[130:131]
	v_fma_f64 v[130:131], v[124:125], s[12:13], v[130:131]
	v_add_f64 v[124:125], v[138:139], v[142:143]
	buffer_store_dword v0, off, s[40:43], 0 offset:1764 ; 4-byte Folded Spill
	v_fma_f64 v[42:43], v[42:43], -0.5, v[132:133]
	v_add_f64 v[132:133], v[132:133], v[136:137]
	ds_write_b128 v0, v[52:55]
	ds_write_b128 v0, v[56:59] offset:2400
	ds_write_b128 v0, v[60:63] offset:4800
	v_mad_legacy_u16 v0, v8, s2, v16
	v_lshlrev_b32_e32 v0, 4, v0
	buffer_store_dword v0, off, s[40:43], 0 offset:1728 ; 4-byte Folded Spill
	v_fma_f64 v[124:125], v[124:125], -0.5, v[134:135]
	v_add_f64 v[134:135], v[134:135], v[138:139]
	v_add_f64 v[138:139], v[138:139], -v[142:143]
	v_add_f64 v[132:133], v[132:133], v[140:141]
	ds_write_b128 v0, v[64:67]
	ds_write_b128 v0, v[68:71] offset:2400
	ds_write_b128 v0, v[72:75] offset:4800
	v_mad_legacy_u16 v0, v9, s2, v17
	v_lshlrev_b32_e32 v0, 4, v0
	buffer_store_dword v0, off, s[40:43], 0 offset:1660 ; 4-byte Folded Spill
	ds_write_b128 v0, v[76:79]
	ds_write_b128 v0, v[80:83] offset:2400
	ds_write_b128 v0, v[84:87] offset:4800
	v_add_f64 v[134:135], v[134:135], v[142:143]
	v_add_f64 v[142:143], v[136:137], -v[140:141]
	v_fma_f64 v[136:137], v[138:139], s[12:13], v[42:43]
	v_fma_f64 v[140:141], v[138:139], s[6:7], v[42:43]
	v_add_f64 v[42:43], v[148:149], v[152:153]
	v_mad_legacy_u16 v0, v10, s2, v18
	v_lshlrev_b32_e32 v0, 4, v0
	buffer_store_dword v0, off, s[40:43], 0 offset:1640 ; 4-byte Folded Spill
	ds_write_b128 v0, v[90:93]
	ds_write_b128 v0, v[94:97] offset:2400
	ds_write_b128 v0, v[98:101] offset:4800
	v_fma_f64 v[138:139], v[142:143], s[6:7], v[124:125]
	v_fma_f64 v[142:143], v[142:143], s[12:13], v[124:125]
	v_add_f64 v[124:125], v[150:151], v[154:155]
	v_fma_f64 v[42:43], v[42:43], -0.5, v[144:145]
	v_add_f64 v[144:145], v[144:145], v[148:149]
	v_mad_legacy_u16 v0, v11, s2, v19
	v_lshlrev_b32_e32 v0, 4, v0
	buffer_store_dword v0, off, s[40:43], 0 offset:1584 ; 4-byte Folded Spill
	ds_write_b128 v0, v[102:105]
	ds_write_b128 v0, v[106:109] offset:2400
	ds_write_b128 v0, v[110:113] offset:4800
	v_mad_legacy_u16 v0, v12, s2, v20
	v_fma_f64 v[124:125], v[124:125], -0.5, v[146:147]
	v_add_f64 v[146:147], v[146:147], v[150:151]
	v_add_f64 v[150:151], v[150:151], -v[154:155]
	v_add_f64 v[144:145], v[144:145], v[152:153]
	v_lshlrev_b32_e32 v0, 4, v0
	buffer_store_dword v0, off, s[40:43], 0 offset:1512 ; 4-byte Folded Spill
	ds_write_b128 v0, v[114:117]
	ds_write_b128 v0, v[118:121] offset:2400
	ds_write_b128 v0, v[128:131] offset:4800
	v_mad_legacy_u16 v0, v13, s2, v21
	v_lshlrev_b32_e32 v0, 4, v0
	v_add_f64 v[146:147], v[146:147], v[154:155]
	v_add_f64 v[154:155], v[148:149], -v[152:153]
	v_fma_f64 v[148:149], v[150:151], s[12:13], v[42:43]
	v_fma_f64 v[152:153], v[150:151], s[6:7], v[42:43]
	v_add_co_u32_e64 v7, s[0:1], s14, v15
	buffer_store_dword v0, off, s[40:43], 0 offset:1440 ; 4-byte Folded Spill
	ds_write_b128 v0, v[132:135]
	ds_write_b128 v0, v[136:139] offset:2400
	ds_write_b128 v0, v[140:143] offset:4800
	v_lshlrev_b32_e32 v0, 4, v14
	v_fma_f64 v[150:151], v[154:155], s[6:7], v[124:125]
	v_fma_f64 v[154:155], v[154:155], s[12:13], v[124:125]
	v_addc_co_u32_e64 v8, s[0:1], 0, v2, s[0:1]
	buffer_store_dword v0, off, s[40:43], 0 offset:1400 ; 4-byte Folded Spill
	ds_write_b128 v0, v[144:147] offset:57600
	ds_write_b128 v0, v[148:151] offset:60000
	;; [unrolled: 1-line block ×3, first 2 shown]
	v_add_co_u32_e64 v0, s[0:1], s34, v7
	v_addc_co_u32_e64 v1, s[0:1], 0, v8, s[0:1]
	s_waitcnt vmcnt(0) lgkmcnt(0)
	s_barrier
	global_load_dwordx4 v[13:16], v[0:1], off offset:2944
	s_waitcnt vmcnt(0)
	buffer_store_dword v13, off, s[40:43], 0 offset:1444 ; 4-byte Folded Spill
	s_nop 0
	buffer_store_dword v14, off, s[40:43], 0 offset:1448 ; 4-byte Folded Spill
	buffer_store_dword v15, off, s[40:43], 0 offset:1452 ; 4-byte Folded Spill
	;; [unrolled: 1-line block ×3, first 2 shown]
	ds_read_b128 v[9:12], v44 offset:21600
	s_waitcnt lgkmcnt(0)
	v_mul_f64 v[0:1], v[11:12], v[15:16]
	v_fma_f64 v[21:22], v[9:10], v[13:14], -v[0:1]
	v_mul_f64 v[0:1], v[9:10], v[15:16]
	v_fma_f64 v[23:24], v[11:12], v[13:14], v[0:1]
	v_add_co_u32_e64 v0, s[0:1], s3, v7
	v_addc_co_u32_e64 v1, s[0:1], 0, v8, s[0:1]
	global_load_dwordx4 v[13:16], v[0:1], off offset:16
	s_waitcnt vmcnt(0)
	buffer_store_dword v13, off, s[40:43], 0 offset:1460 ; 4-byte Folded Spill
	s_nop 0
	buffer_store_dword v14, off, s[40:43], 0 offset:1464 ; 4-byte Folded Spill
	buffer_store_dword v15, off, s[40:43], 0 offset:1468 ; 4-byte Folded Spill
	;; [unrolled: 1-line block ×3, first 2 shown]
	ds_read_b128 v[9:12], v44 offset:43200
	s_waitcnt lgkmcnt(0)
	v_mul_f64 v[0:1], v[11:12], v[15:16]
	v_fma_f64 v[25:26], v[9:10], v[13:14], -v[0:1]
	v_mul_f64 v[0:1], v[9:10], v[15:16]
	v_fma_f64 v[27:28], v[11:12], v[13:14], v[0:1]
	v_lshlrev_b32_e32 v0, 5, v127
	v_add_co_u32_e64 v9, s[0:1], s14, v0
	v_addc_co_u32_e64 v10, s[0:1], 0, v2, s[0:1]
	v_add_co_u32_e64 v0, s[0:1], s34, v9
	v_addc_co_u32_e64 v1, s[0:1], 0, v10, s[0:1]
	global_load_dwordx4 v[15:18], v[0:1], off offset:2944
	s_waitcnt vmcnt(0)
	buffer_store_dword v15, off, s[40:43], 0 offset:1516 ; 4-byte Folded Spill
	s_nop 0
	buffer_store_dword v16, off, s[40:43], 0 offset:1520 ; 4-byte Folded Spill
	buffer_store_dword v17, off, s[40:43], 0 offset:1524 ; 4-byte Folded Spill
	;; [unrolled: 1-line block ×3, first 2 shown]
	ds_read_b128 v[11:14], v44 offset:23760
	s_waitcnt lgkmcnt(0)
	v_mul_f64 v[0:1], v[13:14], v[17:18]
	v_fma_f64 v[33:34], v[11:12], v[15:16], -v[0:1]
	v_mul_f64 v[0:1], v[11:12], v[17:18]
	v_fma_f64 v[35:36], v[13:14], v[15:16], v[0:1]
	v_add_co_u32_e64 v0, s[0:1], s3, v9
	v_addc_co_u32_e64 v1, s[0:1], 0, v10, s[0:1]
	global_load_dwordx4 v[15:18], v[0:1], off offset:16
	s_waitcnt vmcnt(0)
	buffer_store_dword v15, off, s[40:43], 0 offset:1532 ; 4-byte Folded Spill
	s_nop 0
	buffer_store_dword v16, off, s[40:43], 0 offset:1536 ; 4-byte Folded Spill
	buffer_store_dword v17, off, s[40:43], 0 offset:1540 ; 4-byte Folded Spill
	;; [unrolled: 1-line block ×3, first 2 shown]
	ds_read_b128 v[11:14], v44 offset:45360
	s_waitcnt lgkmcnt(0)
	v_mul_f64 v[0:1], v[13:14], v[17:18]
	v_fma_f64 v[37:38], v[11:12], v[15:16], -v[0:1]
	v_mul_f64 v[0:1], v[11:12], v[17:18]
	v_add_f64 v[48:49], v[33:34], v[37:38]
	v_fma_f64 v[39:40], v[13:14], v[15:16], v[0:1]
	v_lshlrev_b32_e32 v0, 5, v126
	v_add_co_u32_e64 v11, s[0:1], s14, v0
	v_addc_co_u32_e64 v12, s[0:1], 0, v2, s[0:1]
	v_add_co_u32_e64 v0, s[0:1], s34, v11
	v_addc_co_u32_e64 v1, s[0:1], 0, v12, s[0:1]
	global_load_dwordx4 v[17:20], v[0:1], off offset:2944
	s_waitcnt vmcnt(0)
	buffer_store_dword v17, off, s[40:43], 0 offset:1592 ; 4-byte Folded Spill
	s_nop 0
	buffer_store_dword v18, off, s[40:43], 0 offset:1596 ; 4-byte Folded Spill
	buffer_store_dword v19, off, s[40:43], 0 offset:1600 ; 4-byte Folded Spill
	;; [unrolled: 1-line block ×3, first 2 shown]
	ds_read_b128 v[13:16], v44 offset:25920
	v_add_f64 v[50:51], v[35:36], v[39:40]
	s_waitcnt lgkmcnt(0)
	v_mul_f64 v[0:1], v[15:16], v[19:20]
	v_fma_f64 v[41:42], v[13:14], v[17:18], -v[0:1]
	v_mul_f64 v[0:1], v[13:14], v[19:20]
	v_fma_f64 v[52:53], v[15:16], v[17:18], v[0:1]
	v_add_co_u32_e64 v0, s[0:1], s3, v11
	v_addc_co_u32_e64 v1, s[0:1], 0, v12, s[0:1]
	global_load_dwordx4 v[17:20], v[0:1], off offset:16
	s_waitcnt vmcnt(0)
	buffer_store_dword v17, off, s[40:43], 0 offset:1608 ; 4-byte Folded Spill
	s_nop 0
	buffer_store_dword v18, off, s[40:43], 0 offset:1612 ; 4-byte Folded Spill
	buffer_store_dword v19, off, s[40:43], 0 offset:1616 ; 4-byte Folded Spill
	;; [unrolled: 1-line block ×3, first 2 shown]
	ds_read_b128 v[13:16], v44 offset:47520
	v_cmp_gt_u16_e64 s[0:1], 45, v172
	buffer_store_dword v172, off, s[40:43], 0 offset:488 ; 4-byte Folded Spill
	s_waitcnt lgkmcnt(0)
	v_mul_f64 v[0:1], v[15:16], v[19:20]
	v_fma_f64 v[54:55], v[13:14], v[17:18], -v[0:1]
	v_mul_f64 v[0:1], v[13:14], v[19:20]
	v_add_f64 v[58:59], v[41:42], v[54:55]
	v_fma_f64 v[56:57], v[15:16], v[17:18], v[0:1]
	v_addc_co_u32_e64 v0, s[38:39], 0, 0, vcc
	v_add_co_u32_e32 v13, vcc, s15, v172
	v_addc_co_u32_e64 v1, s[38:39], 0, -1, vcc
	v_cndmask_b32_e64 v1, v1, v0, s[0:1]
	v_cndmask_b32_e64 v0, v13, v47, s[0:1]
	v_lshlrev_b64 v[13:14], 5, v[0:1]
	s_movk_i32 s0, 0x26c0
	v_add_co_u32_e32 v1, vcc, s14, v13
	v_addc_co_u32_e32 v19, vcc, v2, v14, vcc
	v_add_co_u32_e32 v13, vcc, s34, v1
	v_addc_co_u32_e32 v14, vcc, 0, v19, vcc
	global_load_dwordx4 v[29:32], v[13:14], off offset:2944
	s_waitcnt vmcnt(0)
	buffer_store_dword v29, off, s[40:43], 0 offset:1696 ; 4-byte Folded Spill
	s_nop 0
	buffer_store_dword v30, off, s[40:43], 0 offset:1700 ; 4-byte Folded Spill
	buffer_store_dword v31, off, s[40:43], 0 offset:1704 ; 4-byte Folded Spill
	;; [unrolled: 1-line block ×3, first 2 shown]
	ds_read_b128 v[13:16], v44 offset:28080
	v_add_f64 v[60:61], v[52:53], v[56:57]
	v_add_f64 v[62:63], v[52:53], -v[56:57]
	s_waitcnt lgkmcnt(0)
	v_mul_f64 v[17:18], v[15:16], v[31:32]
	v_fma_f64 v[64:65], v[13:14], v[29:30], -v[17:18]
	v_mul_f64 v[13:14], v[13:14], v[31:32]
	v_fma_f64 v[66:67], v[15:16], v[29:30], v[13:14]
	v_add_co_u32_e32 v13, vcc, s3, v1
	v_addc_co_u32_e32 v14, vcc, 0, v19, vcc
	global_load_dwordx4 v[29:32], v[13:14], off offset:16
	s_waitcnt vmcnt(0)
	buffer_store_dword v29, off, s[40:43], 0 offset:1712 ; 4-byte Folded Spill
	s_nop 0
	buffer_store_dword v30, off, s[40:43], 0 offset:1716 ; 4-byte Folded Spill
	buffer_store_dword v31, off, s[40:43], 0 offset:1720 ; 4-byte Folded Spill
	;; [unrolled: 1-line block ×3, first 2 shown]
	ds_read_b128 v[13:16], v44 offset:49680
	s_waitcnt lgkmcnt(0)
	v_mul_f64 v[17:18], v[15:16], v[31:32]
	v_fma_f64 v[68:69], v[13:14], v[29:30], -v[17:18]
	v_mul_f64 v[13:14], v[13:14], v[31:32]
	v_fma_f64 v[70:71], v[15:16], v[29:30], v[13:14]
	v_add_co_u32_e32 v13, vcc, s36, v7
	v_addc_co_u32_e32 v14, vcc, 0, v8, vcc
	global_load_dwordx4 v[29:32], v[13:14], off offset:1728
	ds_read_b128 v[13:16], v44 offset:30240
	v_add_f64 v[72:73], v[66:67], v[70:71]
	s_waitcnt vmcnt(0) lgkmcnt(0)
	v_mul_f64 v[17:18], v[15:16], v[31:32]
	v_fma_f64 v[76:77], v[13:14], v[29:30], -v[17:18]
	buffer_store_dword v29, off, s[40:43], 0 offset:1732 ; 4-byte Folded Spill
	s_nop 0
	buffer_store_dword v30, off, s[40:43], 0 offset:1736 ; 4-byte Folded Spill
	buffer_store_dword v31, off, s[40:43], 0 offset:1740 ; 4-byte Folded Spill
	;; [unrolled: 1-line block ×3, first 2 shown]
	v_mul_f64 v[13:14], v[13:14], v[31:32]
	v_fma_f64 v[78:79], v[15:16], v[29:30], v[13:14]
	v_add_co_u32_e32 v13, vcc, s0, v7
	v_addc_co_u32_e32 v14, vcc, 0, v8, vcc
	global_load_dwordx4 v[29:32], v[13:14], off offset:16
	s_waitcnt vmcnt(0)
	buffer_store_dword v29, off, s[40:43], 0 offset:1748 ; 4-byte Folded Spill
	s_nop 0
	buffer_store_dword v30, off, s[40:43], 0 offset:1752 ; 4-byte Folded Spill
	buffer_store_dword v31, off, s[40:43], 0 offset:1756 ; 4-byte Folded Spill
	;; [unrolled: 1-line block ×3, first 2 shown]
	ds_read_b128 v[13:16], v44 offset:51840
	s_movk_i32 s0, 0x37a0
	s_waitcnt lgkmcnt(0)
	v_mul_f64 v[17:18], v[15:16], v[31:32]
	v_fma_f64 v[80:81], v[13:14], v[29:30], -v[17:18]
	v_mul_f64 v[13:14], v[13:14], v[31:32]
	v_fma_f64 v[82:83], v[15:16], v[29:30], v[13:14]
	v_add_co_u32_e32 v13, vcc, s35, v7
	v_addc_co_u32_e32 v14, vcc, 0, v8, vcc
	global_load_dwordx4 v[29:32], v[13:14], off offset:1952
	ds_read_b128 v[13:16], v44 offset:32400
	v_add_f64 v[84:85], v[78:79], v[82:83]
	s_waitcnt vmcnt(0) lgkmcnt(0)
	v_mul_f64 v[17:18], v[15:16], v[31:32]
	v_fma_f64 v[90:91], v[13:14], v[29:30], -v[17:18]
	buffer_store_dword v29, off, s[40:43], 0 offset:1768 ; 4-byte Folded Spill
	s_nop 0
	buffer_store_dword v30, off, s[40:43], 0 offset:1772 ; 4-byte Folded Spill
	buffer_store_dword v31, off, s[40:43], 0 offset:1776 ; 4-byte Folded Spill
	buffer_store_dword v32, off, s[40:43], 0 offset:1780 ; 4-byte Folded Spill
	v_mul_f64 v[13:14], v[13:14], v[31:32]
	v_fma_f64 v[92:93], v[15:16], v[29:30], v[13:14]
	v_add_co_u32_e32 v13, vcc, s0, v7
	v_addc_co_u32_e32 v14, vcc, 0, v8, vcc
	global_load_dwordx4 v[252:255], v[13:14], off offset:16
	ds_read_b128 v[13:16], v44 offset:54000
	s_mov_b32 s0, 0x91a3
	v_mul_u32_u24_sdwa v1, v3, s0 dst_sel:DWORD dst_unused:UNUSED_PAD src0_sel:WORD_0 src1_sel:DWORD
	v_lshrrev_b32_e32 v1, 24, v1
	s_waitcnt vmcnt(0) lgkmcnt(0)
	v_mul_f64 v[17:18], v[15:16], v[254:255]
	v_fma_f64 v[94:95], v[13:14], v[252:253], -v[17:18]
	v_mul_f64 v[13:14], v[13:14], v[254:255]
	v_fma_f64 v[96:97], v[15:16], v[252:253], v[13:14]
	v_mul_lo_u16_e32 v13, 0x1c2, v1
	v_sub_u16_e32 v13, v3, v13
	v_lshlrev_b16_e32 v14, 5, v13
	v_add_co_u32_e32 v20, vcc, s14, v14
	v_addc_co_u32_e32 v29, vcc, 0, v2, vcc
	v_add_co_u32_e32 v14, vcc, s34, v20
	v_addc_co_u32_e32 v15, vcc, 0, v29, vcc
	global_load_dwordx4 v[248:251], v[14:15], off offset:2944
	ds_read_b128 v[14:17], v44 offset:34560
	v_add_f64 v[98:99], v[92:93], v[96:97]
	s_waitcnt vmcnt(0) lgkmcnt(0)
	v_mul_f64 v[18:19], v[16:17], v[250:251]
	v_fma_f64 v[102:103], v[14:15], v[248:249], -v[18:19]
	v_mul_f64 v[14:15], v[14:15], v[250:251]
	v_fma_f64 v[104:105], v[16:17], v[248:249], v[14:15]
	v_add_co_u32_e32 v14, vcc, s3, v20
	v_addc_co_u32_e32 v15, vcc, 0, v29, vcc
	global_load_dwordx4 v[240:243], v[14:15], off offset:16
	ds_read_b128 v[14:17], v44 offset:56160
	s_waitcnt vmcnt(0) lgkmcnt(0)
	v_mul_f64 v[18:19], v[16:17], v[242:243]
	v_fma_f64 v[106:107], v[14:15], v[240:241], -v[18:19]
	v_mul_f64 v[14:15], v[14:15], v[242:243]
	v_fma_f64 v[108:109], v[16:17], v[240:241], v[14:15]
	v_mul_u32_u24_sdwa v14, v4, s0 dst_sel:DWORD dst_unused:UNUSED_PAD src0_sel:WORD_0 src1_sel:DWORD
	v_mul_lo_u16_sdwa v14, v14, s2 dst_sel:DWORD dst_unused:UNUSED_PAD src0_sel:BYTE_3 src1_sel:DWORD
	v_sub_u16_e32 v14, v4, v14
	v_lshlrev_b16_e32 v15, 5, v14
	v_add_co_u32_e32 v29, vcc, s14, v15
	v_addc_co_u32_e32 v30, vcc, 0, v2, vcc
	v_add_co_u32_e32 v15, vcc, s34, v29
	v_addc_co_u32_e32 v16, vcc, 0, v30, vcc
	global_load_dwordx4 v[231:234], v[15:16], off offset:2944
	ds_read_b128 v[15:18], v44 offset:36720
	v_add_f64 v[110:111], v[104:105], v[108:109]
	s_waitcnt vmcnt(0) lgkmcnt(0)
	v_mul_f64 v[19:20], v[17:18], v[233:234]
	v_fma_f64 v[114:115], v[15:16], v[231:232], -v[19:20]
	v_mul_f64 v[15:16], v[15:16], v[233:234]
	v_fma_f64 v[116:117], v[17:18], v[231:232], v[15:16]
	v_add_co_u32_e32 v15, vcc, s3, v29
	v_addc_co_u32_e32 v16, vcc, 0, v30, vcc
	global_load_dwordx4 v[213:216], v[15:16], off offset:16
	ds_read_b128 v[15:18], v44 offset:58320
	s_waitcnt vmcnt(0) lgkmcnt(0)
	v_mul_f64 v[19:20], v[17:18], v[215:216]
	v_fma_f64 v[118:119], v[15:16], v[213:214], -v[19:20]
	v_mul_f64 v[15:16], v[15:16], v[215:216]
	v_fma_f64 v[120:121], v[17:18], v[213:214], v[15:16]
	v_mul_u32_u24_sdwa v15, v5, s0 dst_sel:DWORD dst_unused:UNUSED_PAD src0_sel:WORD_0 src1_sel:DWORD
	v_mul_lo_u16_sdwa v15, v15, s2 dst_sel:DWORD dst_unused:UNUSED_PAD src0_sel:BYTE_3 src1_sel:DWORD
	;; [unrolled: 25-line block ×3, first 2 shown]
	v_sub_u16_e32 v16, v6, v16
	v_lshlrev_b16_e32 v17, 5, v16
	v_add_co_u32_e32 v31, vcc, s14, v17
	v_addc_co_u32_e32 v32, vcc, 0, v2, vcc
	v_add_co_u32_e32 v17, vcc, s34, v31
	v_addc_co_u32_e32 v18, vcc, 0, v32, vcc
	global_load_dwordx4 v[185:188], v[17:18], off offset:2944
	ds_read_b128 v[17:20], v44 offset:41040
	v_add_f64 v[136:137], v[130:131], v[134:135]
	v_add_f64 v[138:139], v[130:131], -v[134:135]
	s_movk_i32 s0, 0x546
	s_waitcnt vmcnt(0) lgkmcnt(0)
	v_mul_f64 v[29:30], v[19:20], v[187:188]
	v_fma_f64 v[142:143], v[17:18], v[185:186], -v[29:30]
	v_mul_f64 v[17:18], v[17:18], v[187:188]
	v_fma_f64 v[144:145], v[19:20], v[185:186], v[17:18]
	v_add_co_u32_e32 v17, vcc, s3, v31
	v_addc_co_u32_e32 v18, vcc, 0, v32, vcc
	global_load_dwordx4 v[173:176], v[17:18], off offset:16
	ds_read_b128 v[17:20], v44 offset:62640
	v_add_f64 v[31:32], v[23:24], v[27:28]
	v_cmp_lt_u16_e32 vcc, 44, v172
	s_load_dwordx2 s[2:3], s[4:5], 0x38
	s_waitcnt vmcnt(0) lgkmcnt(0)
	v_mul_f64 v[29:30], v[19:20], v[175:176]
	v_fma_f64 v[146:147], v[17:18], v[173:174], -v[29:30]
	v_mul_f64 v[17:18], v[17:18], v[175:176]
	v_add_f64 v[29:30], v[21:22], v[25:26]
	v_fma_f64 v[148:149], v[19:20], v[173:174], v[17:18]
	ds_read_b128 v[17:20], v44
	s_waitcnt lgkmcnt(0)
	v_fma_f64 v[31:32], v[31:32], -0.5, v[19:20]
	v_add_f64 v[19:20], v[19:20], v[23:24]
	v_fma_f64 v[29:30], v[29:30], -0.5, v[17:18]
	v_add_f64 v[17:18], v[17:18], v[21:22]
	v_add_f64 v[23:24], v[23:24], -v[27:28]
	v_add_f64 v[19:20], v[19:20], v[27:28]
	v_add_f64 v[27:28], v[21:22], -v[25:26]
	v_add_f64 v[17:18], v[17:18], v[25:26]
	v_fma_f64 v[21:22], v[23:24], s[12:13], v[29:30]
	v_fma_f64 v[25:26], v[23:24], s[6:7], v[29:30]
	;; [unrolled: 1-line block ×4, first 2 shown]
	ds_read_b128 v[29:32], v44 offset:2160
	s_waitcnt lgkmcnt(0)
	v_fma_f64 v[50:51], v[50:51], -0.5, v[31:32]
	v_add_f64 v[31:32], v[31:32], v[35:36]
	v_fma_f64 v[48:49], v[48:49], -0.5, v[29:30]
	v_add_f64 v[29:30], v[29:30], v[33:34]
	v_add_f64 v[35:36], v[35:36], -v[39:40]
	v_add_f64 v[31:32], v[31:32], v[39:40]
	v_add_f64 v[39:40], v[33:34], -v[37:38]
	v_add_f64 v[29:30], v[29:30], v[37:38]
	v_fma_f64 v[33:34], v[35:36], s[12:13], v[48:49]
	v_fma_f64 v[37:38], v[35:36], s[6:7], v[48:49]
	;; [unrolled: 1-line block ×4, first 2 shown]
	ds_read_b128 v[48:51], v44 offset:4320
	s_waitcnt lgkmcnt(0)
	v_fma_f64 v[58:59], v[58:59], -0.5, v[48:49]
	v_fma_f64 v[60:61], v[60:61], -0.5, v[50:51]
	v_add_f64 v[50:51], v[50:51], v[52:53]
	v_add_f64 v[48:49], v[48:49], v[41:42]
	v_add_f64 v[41:42], v[41:42], -v[54:55]
	v_fma_f64 v[52:53], v[62:63], s[12:13], v[58:59]
	v_add_f64 v[50:51], v[50:51], v[56:57]
	v_add_f64 v[48:49], v[48:49], v[54:55]
	v_fma_f64 v[56:57], v[62:63], s[6:7], v[58:59]
	v_fma_f64 v[54:55], v[41:42], s[6:7], v[60:61]
	;; [unrolled: 1-line block ×3, first 2 shown]
	ds_read_b128 v[60:63], v44 offset:6480
	v_add_f64 v[41:42], v[64:65], v[68:69]
	s_waitcnt lgkmcnt(0)
	v_fma_f64 v[72:73], v[72:73], -0.5, v[62:63]
	v_add_f64 v[62:63], v[62:63], v[66:67]
	v_add_f64 v[66:67], v[66:67], -v[70:71]
	v_fma_f64 v[41:42], v[41:42], -0.5, v[60:61]
	v_add_f64 v[60:61], v[60:61], v[64:65]
	v_add_f64 v[62:63], v[62:63], v[70:71]
	v_add_f64 v[70:71], v[64:65], -v[68:69]
	v_fma_f64 v[64:65], v[66:67], s[12:13], v[41:42]
	v_add_f64 v[60:61], v[60:61], v[68:69]
	v_fma_f64 v[68:69], v[66:67], s[6:7], v[41:42]
	v_add_f64 v[41:42], v[76:77], v[80:81]
	v_fma_f64 v[66:67], v[70:71], s[6:7], v[72:73]
	v_fma_f64 v[70:71], v[70:71], s[12:13], v[72:73]
	ds_read_b128 v[72:75], v44 offset:8640
	s_waitcnt lgkmcnt(0)
	v_fma_f64 v[84:85], v[84:85], -0.5, v[74:75]
	v_add_f64 v[74:75], v[74:75], v[78:79]
	v_fma_f64 v[41:42], v[41:42], -0.5, v[72:73]
	v_add_f64 v[72:73], v[72:73], v[76:77]
	v_add_f64 v[78:79], v[78:79], -v[82:83]
	v_add_f64 v[74:75], v[74:75], v[82:83]
	v_add_f64 v[82:83], v[76:77], -v[80:81]
	v_add_f64 v[72:73], v[72:73], v[80:81]
	v_fma_f64 v[76:77], v[78:79], s[12:13], v[41:42]
	v_fma_f64 v[80:81], v[78:79], s[6:7], v[41:42]
	v_add_f64 v[41:42], v[90:91], v[94:95]
	v_fma_f64 v[78:79], v[82:83], s[6:7], v[84:85]
	v_fma_f64 v[82:83], v[82:83], s[12:13], v[84:85]
	ds_read_b128 v[84:87], v44 offset:10800
	s_waitcnt lgkmcnt(0)
	v_fma_f64 v[98:99], v[98:99], -0.5, v[86:87]
	v_add_f64 v[86:87], v[86:87], v[92:93]
	v_fma_f64 v[41:42], v[41:42], -0.5, v[84:85]
	v_add_f64 v[84:85], v[84:85], v[90:91]
	v_add_f64 v[92:93], v[92:93], -v[96:97]
	v_add_f64 v[86:87], v[86:87], v[96:97]
	v_add_f64 v[96:97], v[90:91], -v[94:95]
	v_add_f64 v[84:85], v[84:85], v[94:95]
	v_fma_f64 v[90:91], v[92:93], s[12:13], v[41:42]
	;; [unrolled: 15-line block ×4, first 2 shown]
	v_fma_f64 v[118:119], v[116:117], s[6:7], v[41:42]
	v_add_f64 v[41:42], v[124:125], v[132:133]
	v_fma_f64 v[116:117], v[120:121], s[6:7], v[126:127]
	v_fma_f64 v[120:121], v[120:121], s[12:13], v[126:127]
	ds_read_b128 v[126:129], v44 offset:17280
	s_waitcnt lgkmcnt(0)
	v_fma_f64 v[41:42], v[41:42], -0.5, v[126:127]
	v_fma_f64 v[136:137], v[136:137], -0.5, v[128:129]
	v_add_f64 v[126:127], v[126:127], v[124:125]
	v_add_f64 v[124:125], v[124:125], -v[132:133]
	v_add_f64 v[128:129], v[128:129], v[130:131]
	v_fma_f64 v[130:131], v[138:139], s[12:13], v[41:42]
	v_add_f64 v[126:127], v[126:127], v[132:133]
	v_fma_f64 v[132:133], v[124:125], s[6:7], v[136:137]
	v_fma_f64 v[136:137], v[124:125], s[12:13], v[136:137]
	v_add_f64 v[124:125], v[144:145], v[148:149]
	v_add_f64 v[128:129], v[128:129], v[134:135]
	v_fma_f64 v[134:135], v[138:139], s[6:7], v[41:42]
	ds_read_b128 v[138:141], v44 offset:19440
	v_add_f64 v[41:42], v[142:143], v[146:147]
	s_waitcnt lgkmcnt(0)
	s_barrier
	v_fma_f64 v[124:125], v[124:125], -0.5, v[140:141]
	v_add_f64 v[140:141], v[140:141], v[144:145]
	v_add_f64 v[144:145], v[144:145], -v[148:149]
	ds_write_b128 v44, v[17:20]
	ds_write_b128 v44, v[21:24] offset:7200
	ds_write_b128 v44, v[25:28] offset:14400
	;; [unrolled: 1-line block ×8, first 2 shown]
	v_fma_f64 v[41:42], v[41:42], -0.5, v[138:139]
	v_add_f64 v[138:139], v[138:139], v[142:143]
	v_mov_b32_e32 v17, 0x546
	v_cndmask_b32_e32 v17, 0, v17, vcc
	v_add_lshl_u32 v0, v0, v17, 4
	v_add_f64 v[140:141], v[140:141], v[148:149]
	v_add_f64 v[148:149], v[142:143], -v[146:147]
	buffer_store_dword v0, off, s[40:43], 0 offset:1804 ; 4-byte Folded Spill
	v_fma_f64 v[142:143], v[144:145], s[12:13], v[41:42]
	v_add_f64 v[138:139], v[138:139], v[146:147]
	v_fma_f64 v[146:147], v[144:145], s[6:7], v[41:42]
	ds_write_b128 v0, v[60:63]
	ds_write_b128 v0, v[64:67] offset:7200
	ds_write_b128 v0, v[68:71] offset:14400
	;; [unrolled: 1-line block ×8, first 2 shown]
	v_mad_legacy_u16 v0, v1, s0, v13
	v_lshlrev_b32_e32 v0, 4, v0
	v_fma_f64 v[144:145], v[148:149], s[6:7], v[124:125]
	v_fma_f64 v[148:149], v[148:149], s[12:13], v[124:125]
	buffer_store_dword v0, off, s[40:43], 0 offset:1800 ; 4-byte Folded Spill
	ds_write_b128 v0, v[98:101]
	ds_write_b128 v0, v[102:105] offset:7200
	ds_write_b128 v0, v[106:109] offset:14400
	v_lshlrev_b32_e32 v0, 4, v14
	buffer_store_dword v0, off, s[40:43], 0 offset:1788 ; 4-byte Folded Spill
	ds_write_b128 v0, v[110:113] offset:43200
	ds_write_b128 v0, v[114:117] offset:50400
	ds_write_b128 v0, v[118:121] offset:57600
	v_lshlrev_b32_e32 v0, 4, v15
	buffer_store_dword v0, off, s[40:43], 0 offset:1792 ; 4-byte Folded Spill
	ds_write_b128 v0, v[126:129] offset:43200
	;; [unrolled: 5-line block ×3, first 2 shown]
	ds_write_b128 v0, v[142:145] offset:50400
	ds_write_b128 v0, v[146:149] offset:57600
	v_add_co_u32_e32 v0, vcc, s33, v7
	v_addc_co_u32_e32 v1, vcc, 0, v8, vcc
	s_waitcnt vmcnt(0) lgkmcnt(0)
	s_barrier
	global_load_dwordx4 v[244:247], v[0:1], off offset:960
	ds_read_b128 v[13:16], v44 offset:21600
	ds_read_b128 v[114:117], v44 offset:19440
	s_movk_i32 s0, 0x53c0
	ds_read_b128 v[63:66], v44 offset:10800
	ds_read_b128 v[75:78], v44 offset:12960
	;; [unrolled: 1-line block ×4, first 2 shown]
	s_waitcnt vmcnt(0) lgkmcnt(5)
	v_mul_f64 v[0:1], v[15:16], v[246:247]
	v_fma_f64 v[17:18], v[13:14], v[244:245], -v[0:1]
	v_mul_f64 v[0:1], v[13:14], v[246:247]
	v_fma_f64 v[19:20], v[15:16], v[244:245], v[0:1]
	v_add_co_u32_e32 v0, vcc, s0, v7
	v_addc_co_u32_e32 v1, vcc, 0, v8, vcc
	global_load_dwordx4 v[235:238], v[0:1], off offset:16
	ds_read_b128 v[13:16], v44 offset:43200
	s_waitcnt vmcnt(0) lgkmcnt(0)
	v_mul_f64 v[0:1], v[15:16], v[237:238]
	v_fma_f64 v[21:22], v[13:14], v[235:236], -v[0:1]
	v_mul_f64 v[0:1], v[13:14], v[237:238]
	v_fma_f64 v[23:24], v[15:16], v[235:236], v[0:1]
	v_add_co_u32_e32 v0, vcc, s33, v9
	v_addc_co_u32_e32 v1, vcc, 0, v10, vcc
	global_load_dwordx4 v[227:230], v[0:1], off offset:960
	ds_read_b128 v[13:16], v44 offset:23760
	;; [unrolled: 9-line block ×3, first 2 shown]
	v_add_f64 v[14:15], v[19:20], -v[23:24]
	s_waitcnt vmcnt(0) lgkmcnt(0)
	v_mul_f64 v[0:1], v[9:10], v[223:224]
	v_fma_f64 v[29:30], v[7:8], v[221:222], -v[0:1]
	v_mul_f64 v[0:1], v[7:8], v[223:224]
	v_fma_f64 v[31:32], v[9:10], v[221:222], v[0:1]
	v_add_co_u32_e32 v0, vcc, s33, v11
	v_addc_co_u32_e32 v1, vcc, 0, v12, vcc
	global_load_dwordx4 v[217:220], v[0:1], off offset:960
	ds_read_b128 v[7:10], v44 offset:25920
	s_waitcnt vmcnt(0) lgkmcnt(0)
	v_mul_f64 v[0:1], v[9:10], v[219:220]
	v_fma_f64 v[33:34], v[7:8], v[217:218], -v[0:1]
	v_mul_f64 v[0:1], v[7:8], v[219:220]
	v_fma_f64 v[35:36], v[9:10], v[217:218], v[0:1]
	v_add_co_u32_e32 v0, vcc, s0, v11
	v_addc_co_u32_e32 v1, vcc, 0, v12, vcc
	global_load_dwordx4 v[209:212], v[0:1], off offset:16
	ds_read_b128 v[7:10], v44 offset:47520
	s_waitcnt vmcnt(0) lgkmcnt(0)
	v_mul_f64 v[0:1], v[9:10], v[211:212]
	v_fma_f64 v[37:38], v[7:8], v[209:210], -v[0:1]
	v_mul_f64 v[0:1], v[7:8], v[211:212]
	v_fma_f64 v[39:40], v[9:10], v[209:210], v[0:1]
	v_lshlrev_b32_e32 v0, 5, v47
	v_add_co_u32_e32 v11, vcc, s14, v0
	v_addc_co_u32_e32 v12, vcc, 0, v2, vcc
	v_add_co_u32_e32 v0, vcc, s33, v11
	v_addc_co_u32_e32 v1, vcc, 0, v12, vcc
	global_load_dwordx4 v[201:204], v[0:1], off offset:960
	ds_read_b128 v[7:10], v44 offset:28080
	s_waitcnt vmcnt(0) lgkmcnt(0)
	v_mul_f64 v[0:1], v[9:10], v[203:204]
	v_fma_f64 v[41:42], v[7:8], v[201:202], -v[0:1]
	v_mul_f64 v[0:1], v[7:8], v[203:204]
	v_fma_f64 v[47:48], v[9:10], v[201:202], v[0:1]
	v_add_co_u32_e32 v0, vcc, s0, v11
	v_addc_co_u32_e32 v1, vcc, 0, v12, vcc
	global_load_dwordx4 v[197:200], v[0:1], off offset:16
	ds_read_b128 v[7:10], v44 offset:49680
	s_waitcnt vmcnt(0) lgkmcnt(0)
	v_mul_f64 v[0:1], v[9:10], v[199:200]
	v_fma_f64 v[49:50], v[7:8], v[197:198], -v[0:1]
	v_mul_f64 v[0:1], v[7:8], v[199:200]
	v_fma_f64 v[51:52], v[9:10], v[197:198], v[0:1]
	v_lshlrev_b32_e32 v0, 5, v122
	v_add_co_u32_e32 v11, vcc, s14, v0
	v_addc_co_u32_e32 v12, vcc, 0, v2, vcc
	;; [unrolled: 21-line block ×7, first 2 shown]
	v_add_co_u32_e32 v0, vcc, s33, v6
	v_addc_co_u32_e32 v1, vcc, 0, v7, vcc
	global_load_dwordx4 v[140:143], v[0:1], off offset:960
	ds_read_b128 v[0:3], v44 offset:41040
	s_waitcnt vmcnt(0) lgkmcnt(0)
	v_mul_f64 v[4:5], v[2:3], v[142:143]
	v_fma_f64 v[118:119], v[0:1], v[140:141], -v[4:5]
	v_mul_f64 v[0:1], v[0:1], v[142:143]
	v_fma_f64 v[120:121], v[2:3], v[140:141], v[0:1]
	v_add_co_u32_e32 v0, vcc, s0, v6
	v_addc_co_u32_e32 v1, vcc, 0, v7, vcc
	global_load_dwordx4 v[144:147], v[0:1], off offset:16
	ds_read_b128 v[0:3], v44 offset:62640
	s_mov_b32 s0, 0x11000
	s_waitcnt vmcnt(0) lgkmcnt(0)
	v_mul_f64 v[4:5], v[2:3], v[146:147]
	v_fma_f64 v[126:127], v[0:1], v[144:145], -v[4:5]
	v_mul_f64 v[0:1], v[0:1], v[146:147]
	v_add_f64 v[4:5], v[17:18], v[21:22]
	v_fma_f64 v[128:129], v[2:3], v[144:145], v[0:1]
	ds_read_b128 v[0:3], v44
	s_waitcnt lgkmcnt(0)
	v_fma_f64 v[6:7], v[4:5], -0.5, v[0:1]
	v_add_f64 v[4:5], v[19:20], v[23:24]
	v_add_f64 v[0:1], v[0:1], v[17:18]
	v_fma_f64 v[122:123], v[14:15], s[6:7], v[6:7]
	v_fma_f64 v[12:13], v[4:5], -0.5, v[2:3]
	v_add_f64 v[8:9], v[0:1], v[21:22]
	v_add_f64 v[0:1], v[17:18], -v[21:22]
	v_add_f64 v[2:3], v[2:3], v[19:20]
	v_fma_f64 v[4:5], v[14:15], s[12:13], v[6:7]
	v_add_f64 v[18:19], v[27:28], -v[31:32]
	v_fma_f64 v[6:7], v[0:1], s[6:7], v[12:13]
	v_fma_f64 v[124:125], v[0:1], s[12:13], v[12:13]
	v_add_f64 v[0:1], v[25:26], v[29:30]
	v_add_f64 v[10:11], v[2:3], v[23:24]
	ds_read_b128 v[12:15], v44 offset:2160
	v_add_f64 v[2:3], v[27:28], v[31:32]
	v_add_f64 v[22:23], v[25:26], -v[29:30]
	s_waitcnt lgkmcnt(0)
	v_fma_f64 v[0:1], v[0:1], -0.5, v[12:13]
	v_add_f64 v[12:13], v[12:13], v[25:26]
	v_fma_f64 v[2:3], v[2:3], -0.5, v[14:15]
	v_add_f64 v[14:15], v[14:15], v[27:28]
	ds_read_b128 v[24:27], v44 offset:4320
	v_fma_f64 v[16:17], v[18:19], s[12:13], v[0:1]
	v_fma_f64 v[20:21], v[18:19], s[6:7], v[0:1]
	v_add_f64 v[0:1], v[33:34], v[37:38]
	v_fma_f64 v[18:19], v[22:23], s[6:7], v[2:3]
	v_fma_f64 v[22:23], v[22:23], s[12:13], v[2:3]
	v_add_f64 v[2:3], v[35:36], v[39:40]
	v_add_f64 v[14:15], v[14:15], v[31:32]
	v_add_f64 v[12:13], v[12:13], v[29:30]
	v_add_f64 v[30:31], v[35:36], -v[39:40]
	s_waitcnt lgkmcnt(0)
	v_fma_f64 v[0:1], v[0:1], -0.5, v[24:25]
	v_add_f64 v[24:25], v[24:25], v[33:34]
	v_fma_f64 v[2:3], v[2:3], -0.5, v[26:27]
	v_add_f64 v[26:27], v[26:27], v[35:36]
	v_add_f64 v[34:35], v[33:34], -v[37:38]
	v_fma_f64 v[28:29], v[30:31], s[12:13], v[0:1]
	v_fma_f64 v[32:33], v[30:31], s[6:7], v[0:1]
	v_add_f64 v[0:1], v[41:42], v[49:50]
	v_add_f64 v[24:25], v[24:25], v[37:38]
	;; [unrolled: 1-line block ×3, first 2 shown]
	ds_read_b128 v[36:39], v44 offset:6480
	v_fma_f64 v[30:31], v[34:35], s[6:7], v[2:3]
	v_fma_f64 v[34:35], v[34:35], s[12:13], v[2:3]
	v_add_f64 v[2:3], v[47:48], v[51:52]
	s_waitcnt lgkmcnt(0)
	v_fma_f64 v[0:1], v[0:1], -0.5, v[36:37]
	v_add_f64 v[36:37], v[36:37], v[41:42]
	v_fma_f64 v[2:3], v[2:3], -0.5, v[38:39]
	v_add_f64 v[38:39], v[38:39], v[47:48]
	v_add_f64 v[47:48], v[47:48], -v[51:52]
	v_add_f64 v[36:37], v[36:37], v[49:50]
	v_add_f64 v[49:50], v[41:42], -v[49:50]
	v_add_f64 v[38:39], v[38:39], v[51:52]
	ds_read_b128 v[51:54], v44 offset:8640
	v_fma_f64 v[40:41], v[47:48], s[12:13], v[0:1]
	v_fma_f64 v[42:43], v[49:50], s[6:7], v[2:3]
	;; [unrolled: 1-line block ×3, first 2 shown]
	v_add_f64 v[2:3], v[57:58], v[61:62]
	v_fma_f64 v[47:48], v[47:48], s[6:7], v[0:1]
	v_add_f64 v[0:1], v[55:56], v[59:60]
	s_waitcnt lgkmcnt(0)
	v_fma_f64 v[2:3], v[2:3], -0.5, v[53:54]
	v_add_f64 v[53:54], v[53:54], v[57:58]
	v_fma_f64 v[0:1], v[0:1], -0.5, v[51:52]
	v_add_f64 v[51:52], v[51:52], v[55:56]
	v_add_f64 v[57:58], v[57:58], -v[61:62]
	v_add_f64 v[53:54], v[53:54], v[61:62]
	v_add_f64 v[61:62], v[55:56], -v[59:60]
	v_add_f64 v[51:52], v[51:52], v[59:60]
	v_fma_f64 v[55:56], v[57:58], s[12:13], v[0:1]
	v_fma_f64 v[59:60], v[57:58], s[6:7], v[0:1]
	v_add_f64 v[0:1], v[67:68], v[71:72]
	v_fma_f64 v[57:58], v[61:62], s[6:7], v[2:3]
	v_fma_f64 v[61:62], v[61:62], s[12:13], v[2:3]
	v_add_f64 v[2:3], v[69:70], v[73:74]
	v_fma_f64 v[0:1], v[0:1], -0.5, v[63:64]
	v_add_f64 v[63:64], v[63:64], v[67:68]
	v_fma_f64 v[2:3], v[2:3], -0.5, v[65:66]
	v_add_f64 v[65:66], v[65:66], v[69:70]
	v_add_f64 v[69:70], v[69:70], -v[73:74]
	v_add_f64 v[63:64], v[63:64], v[71:72]
	v_add_f64 v[65:66], v[65:66], v[73:74]
	v_add_f64 v[73:74], v[67:68], -v[71:72]
	v_fma_f64 v[67:68], v[69:70], s[12:13], v[0:1]
	v_fma_f64 v[71:72], v[69:70], s[6:7], v[0:1]
	v_add_f64 v[0:1], v[79:80], v[83:84]
	v_fma_f64 v[69:70], v[73:74], s[6:7], v[2:3]
	v_fma_f64 v[73:74], v[73:74], s[12:13], v[2:3]
	v_add_f64 v[2:3], v[81:82], v[85:86]
	v_fma_f64 v[0:1], v[0:1], -0.5, v[75:76]
	v_add_f64 v[75:76], v[75:76], v[79:80]
	v_fma_f64 v[2:3], v[2:3], -0.5, v[77:78]
	v_add_f64 v[77:78], v[77:78], v[81:82]
	v_add_f64 v[81:82], v[81:82], -v[85:86]
	v_add_f64 v[75:76], v[75:76], v[83:84]
	v_add_f64 v[77:78], v[77:78], v[85:86]
	v_add_f64 v[85:86], v[79:80], -v[83:84]
	;; [unrolled: 14-line block ×4, first 2 shown]
	v_fma_f64 v[106:107], v[108:109], s[12:13], v[0:1]
	v_fma_f64 v[110:111], v[108:109], s[6:7], v[0:1]
	v_add_f64 v[0:1], v[118:119], v[126:127]
	v_fma_f64 v[108:109], v[112:113], s[6:7], v[2:3]
	v_fma_f64 v[112:113], v[112:113], s[12:13], v[2:3]
	v_add_f64 v[2:3], v[120:121], v[128:129]
	v_fma_f64 v[0:1], v[0:1], -0.5, v[114:115]
	v_add_f64 v[114:115], v[114:115], v[118:119]
	v_fma_f64 v[2:3], v[2:3], -0.5, v[116:117]
	v_add_f64 v[116:117], v[116:117], v[120:121]
	v_add_f64 v[120:121], v[120:121], -v[128:129]
	v_add_f64 v[114:115], v[114:115], v[126:127]
	v_add_f64 v[126:127], v[118:119], -v[126:127]
	v_add_f64 v[116:117], v[116:117], v[128:129]
	v_fma_f64 v[118:119], v[120:121], s[12:13], v[0:1]
	v_fma_f64 v[0:1], v[120:121], s[6:7], v[0:1]
	;; [unrolled: 1-line block ×4, first 2 shown]
	ds_write_b128 v44, v[8:11]
	ds_write_b128 v44, v[4:7] offset:21600
	ds_write_b128 v44, v[122:125] offset:43200
	;; [unrolled: 1-line block ×29, first 2 shown]
	s_waitcnt lgkmcnt(0)
	s_barrier
	global_load_dwordx4 v[0:3], v[88:89], off offset:3360
	ds_read_b128 v[4:7], v44
	ds_read_b128 v[120:123], v44 offset:36720
	ds_read_b128 v[108:111], v44 offset:17280
	;; [unrolled: 1-line block ×3, first 2 shown]
	s_waitcnt vmcnt(0) lgkmcnt(3)
	v_mul_f64 v[8:9], v[6:7], v[2:3]
	v_mul_f64 v[2:3], v[4:5], v[2:3]
	v_fma_f64 v[132:133], v[4:5], v[0:1], -v[8:9]
	v_fma_f64 v[134:135], v[6:7], v[0:1], v[2:3]
	v_add_co_u32_e32 v0, vcc, s0, v45
	v_addc_co_u32_e32 v1, vcc, 0, v46, vcc
	global_load_dwordx4 v[2:5], v[0:1], off offset:1648
	ds_read_b128 v[6:9], v44 offset:6480
	s_mov_b32 s0, 0x12000
	v_add_co_u32_e32 v84, vcc, s0, v45
	v_addc_co_u32_e32 v85, vcc, 0, v46, vcc
	s_mov_b32 s0, 0x14000
	v_add_co_u32_e32 v92, vcc, s0, v45
	v_addc_co_u32_e32 v93, vcc, 0, v46, vcc
	s_mov_b32 s0, 0x16000
	s_waitcnt vmcnt(0) lgkmcnt(0)
	v_mul_f64 v[10:11], v[8:9], v[4:5]
	v_mul_f64 v[4:5], v[6:7], v[4:5]
	v_fma_f64 v[128:129], v[6:7], v[2:3], -v[10:11]
	v_fma_f64 v[130:131], v[8:9], v[2:3], v[4:5]
	global_load_dwordx4 v[2:5], v[84:85], off offset:4032
	ds_read_b128 v[6:9], v44 offset:12960
	s_waitcnt vmcnt(0) lgkmcnt(0)
	v_mul_f64 v[10:11], v[8:9], v[4:5]
	v_mul_f64 v[4:5], v[6:7], v[4:5]
	v_fma_f64 v[124:125], v[6:7], v[2:3], -v[10:11]
	v_fma_f64 v[126:127], v[8:9], v[2:3], v[4:5]
	global_load_dwordx4 v[2:5], v[92:93], off offset:2320
	ds_read_b128 v[6:9], v44 offset:19440
	s_waitcnt vmcnt(0) lgkmcnt(0)
	v_mul_f64 v[10:11], v[8:9], v[4:5]
	v_mul_f64 v[4:5], v[6:7], v[4:5]
	v_fma_f64 v[75:76], v[6:7], v[2:3], -v[10:11]
	v_add_co_u32_e32 v10, vcc, s0, v45
	v_addc_co_u32_e32 v11, vcc, 0, v46, vcc
	v_fma_f64 v[77:78], v[8:9], v[2:3], v[4:5]
	global_load_dwordx4 v[2:5], v[10:11], off offset:608
	ds_read_b128 v[6:9], v44 offset:25920
	s_mov_b32 s0, 0x17000
	v_add_co_u32_e32 v90, vcc, s0, v45
	v_addc_co_u32_e32 v91, vcc, 0, v46, vcc
	s_mov_b32 s0, 0x19000
	s_waitcnt vmcnt(0) lgkmcnt(0)
	v_mul_f64 v[12:13], v[8:9], v[4:5]
	v_mul_f64 v[4:5], v[6:7], v[4:5]
	v_fma_f64 v[71:72], v[6:7], v[2:3], -v[12:13]
	v_fma_f64 v[73:74], v[8:9], v[2:3], v[4:5]
	global_load_dwordx4 v[2:5], v[90:91], off offset:2992
	ds_read_b128 v[6:9], v44 offset:32400
	s_waitcnt vmcnt(0) lgkmcnt(0)
	v_mul_f64 v[12:13], v[8:9], v[4:5]
	v_mul_f64 v[4:5], v[6:7], v[4:5]
	v_fma_f64 v[67:68], v[6:7], v[2:3], -v[12:13]
	v_add_co_u32_e32 v12, vcc, s0, v45
	v_addc_co_u32_e32 v13, vcc, 0, v46, vcc
	v_fma_f64 v[69:70], v[8:9], v[2:3], v[4:5]
	global_load_dwordx4 v[2:5], v[12:13], off offset:1280
	ds_read_b128 v[6:9], v44 offset:38880
	s_mov_b32 s0, 0x1a000
	v_add_co_u32_e32 v88, vcc, s0, v45
	v_addc_co_u32_e32 v89, vcc, 0, v46, vcc
	s_mov_b32 s0, 0x1c000
	s_waitcnt vmcnt(0) lgkmcnt(0)
	v_mul_f64 v[14:15], v[8:9], v[4:5]
	v_mul_f64 v[4:5], v[6:7], v[4:5]
	v_fma_f64 v[63:64], v[6:7], v[2:3], -v[14:15]
	v_fma_f64 v[65:66], v[8:9], v[2:3], v[4:5]
	global_load_dwordx4 v[2:5], v[88:89], off offset:3664
	ds_read_b128 v[6:9], v44 offset:45360
	s_waitcnt vmcnt(0) lgkmcnt(0)
	v_mul_f64 v[14:15], v[8:9], v[4:5]
	v_mul_f64 v[4:5], v[6:7], v[4:5]
	v_fma_f64 v[59:60], v[6:7], v[2:3], -v[14:15]
	v_fma_f64 v[61:62], v[8:9], v[2:3], v[4:5]
	v_add_co_u32_e32 v2, vcc, s0, v45
	v_addc_co_u32_e32 v3, vcc, 0, v46, vcc
	global_load_dwordx4 v[2:5], v[2:3], off offset:1952
	ds_read_b128 v[6:9], v44 offset:51840
	s_mov_b32 s0, 0x1e000
	s_waitcnt vmcnt(0) lgkmcnt(0)
	v_mul_f64 v[14:15], v[8:9], v[4:5]
	v_mul_f64 v[4:5], v[6:7], v[4:5]
	v_fma_f64 v[100:101], v[6:7], v[2:3], -v[14:15]
	v_add_co_u32_e32 v14, vcc, s0, v45
	v_addc_co_u32_e32 v15, vcc, 0, v46, vcc
	v_fma_f64 v[102:103], v[8:9], v[2:3], v[4:5]
	global_load_dwordx4 v[2:5], v[14:15], off offset:240
	ds_read_b128 v[6:9], v44 offset:58320
	s_mov_b32 s0, 0xfd20
	global_load_dwordx4 v[80:83], v[14:15], off offset:2400
	s_waitcnt vmcnt(1) lgkmcnt(0)
	v_mul_f64 v[16:17], v[8:9], v[4:5]
	v_mul_f64 v[4:5], v[6:7], v[4:5]
	v_fma_f64 v[55:56], v[6:7], v[2:3], -v[16:17]
	v_fma_f64 v[57:58], v[8:9], v[2:3], v[4:5]
	v_add_co_u32_e32 v2, vcc, s0, v45
	v_addc_co_u32_e32 v3, vcc, 0, v46, vcc
	global_load_dwordx4 v[2:5], v[2:3], off offset:2160
	ds_read_b128 v[6:9], v44 offset:2160
	s_mov_b32 s0, 0x13000
	s_waitcnt vmcnt(0) lgkmcnt(0)
	v_mul_f64 v[16:17], v[8:9], v[4:5]
	v_mul_f64 v[4:5], v[6:7], v[4:5]
	v_fma_f64 v[51:52], v[6:7], v[2:3], -v[16:17]
	v_fma_f64 v[53:54], v[8:9], v[2:3], v[4:5]
	global_load_dwordx4 v[0:3], v[0:1], off offset:3808
	ds_read_b128 v[4:7], v44 offset:8640
	s_waitcnt vmcnt(0) lgkmcnt(0)
	v_mul_f64 v[8:9], v[6:7], v[2:3]
	v_mul_f64 v[2:3], v[4:5], v[2:3]
	v_fma_f64 v[47:48], v[4:5], v[0:1], -v[8:9]
	v_fma_f64 v[49:50], v[6:7], v[0:1], v[2:3]
	v_add_co_u32_e32 v0, vcc, s0, v45
	v_addc_co_u32_e32 v1, vcc, 0, v46, vcc
	global_load_dwordx4 v[0:3], v[0:1], off offset:2096
	ds_read_b128 v[4:7], v44 offset:15120
	s_mov_b32 s0, 0x15000
	s_waitcnt vmcnt(0) lgkmcnt(0)
	v_mul_f64 v[8:9], v[6:7], v[2:3]
	v_mul_f64 v[2:3], v[4:5], v[2:3]
	v_fma_f64 v[40:41], v[4:5], v[0:1], -v[8:9]
	v_add_co_u32_e32 v8, vcc, s0, v45
	v_addc_co_u32_e32 v9, vcc, 0, v46, vcc
	v_fma_f64 v[42:43], v[6:7], v[0:1], v[2:3]
	global_load_dwordx4 v[0:3], v[8:9], off offset:384
	ds_read_b128 v[4:7], v44 offset:21600
	s_mov_b32 s0, 0x18000
	v_add_co_u32_e32 v98, vcc, s0, v45
	v_addc_co_u32_e32 v99, vcc, 0, v46, vcc
	s_mov_b32 s0, 0x1b000
	v_add_co_u32_e32 v96, vcc, s0, v45
	v_addc_co_u32_e32 v97, vcc, 0, v46, vcc
	;; [unrolled: 3-line block ×3, first 2 shown]
	s_mov_b32 s0, 0x10000
	s_waitcnt vmcnt(0) lgkmcnt(0)
	v_mul_f64 v[16:17], v[6:7], v[2:3]
	v_mul_f64 v[2:3], v[4:5], v[2:3]
	v_fma_f64 v[36:37], v[4:5], v[0:1], -v[16:17]
	v_fma_f64 v[38:39], v[6:7], v[0:1], v[2:3]
	global_load_dwordx4 v[0:3], v[10:11], off offset:2768
	ds_read_b128 v[4:7], v44 offset:28080
	s_waitcnt vmcnt(0) lgkmcnt(0)
	v_mul_f64 v[10:11], v[6:7], v[2:3]
	v_mul_f64 v[2:3], v[4:5], v[2:3]
	v_fma_f64 v[32:33], v[4:5], v[0:1], -v[10:11]
	v_fma_f64 v[34:35], v[6:7], v[0:1], v[2:3]
	global_load_dwordx4 v[0:3], v[98:99], off offset:1056
	ds_read_b128 v[4:7], v44 offset:34560
	;; [unrolled: 7-line block ×5, first 2 shown]
	s_waitcnt vmcnt(0) lgkmcnt(0)
	v_mul_f64 v[10:11], v[6:7], v[2:3]
	v_mul_f64 v[2:3], v[4:5], v[2:3]
	v_fma_f64 v[16:17], v[4:5], v[0:1], -v[10:11]
	v_fma_f64 v[18:19], v[6:7], v[0:1], v[2:3]
	ds_read_b128 v[0:3], v44 offset:60480
	s_waitcnt lgkmcnt(0)
	v_mul_f64 v[4:5], v[2:3], v[82:83]
	v_mul_f64 v[6:7], v[0:1], v[82:83]
	v_fma_f64 v[12:13], v[0:1], v[80:81], -v[4:5]
	v_add_co_u32_e32 v0, vcc, s0, v45
	v_addc_co_u32_e32 v1, vcc, 0, v46, vcc
	global_load_dwordx4 v[104:107], v[0:1], off offset:3584
	v_fma_f64 v[14:15], v[2:3], v[80:81], v[6:7]
	ds_read_b128 v[80:83], v44 offset:4320
	s_mov_b32 s0, 0x1f000
	s_waitcnt vmcnt(0) lgkmcnt(0)
	v_mul_f64 v[0:1], v[82:83], v[106:107]
	v_mul_f64 v[2:3], v[80:81], v[106:107]
	v_fma_f64 v[80:81], v[80:81], v[104:105], -v[0:1]
	v_fma_f64 v[82:83], v[82:83], v[104:105], v[2:3]
	global_load_dwordx4 v[104:107], v[84:85], off offset:1872
	ds_read_b128 v[84:87], v44 offset:10800
	s_waitcnt vmcnt(0) lgkmcnt(0)
	v_mul_f64 v[0:1], v[86:87], v[106:107]
	v_mul_f64 v[2:3], v[84:85], v[106:107]
	v_fma_f64 v[84:85], v[84:85], v[104:105], -v[0:1]
	v_fma_f64 v[86:87], v[86:87], v[104:105], v[2:3]
	global_load_dwordx4 v[104:107], v[92:93], off offset:160
	s_waitcnt vmcnt(0)
	v_mul_f64 v[0:1], v[110:111], v[106:107]
	v_mul_f64 v[2:3], v[108:109], v[106:107]
	global_load_dwordx4 v[90:93], v[90:91], off offset:832
	v_fma_f64 v[106:107], v[108:109], v[104:105], -v[0:1]
	v_fma_f64 v[108:109], v[110:111], v[104:105], v[2:3]
	global_load_dwordx4 v[110:113], v[8:9], off offset:2544
	s_waitcnt vmcnt(0)
	v_mul_f64 v[0:1], v[116:117], v[112:113]
	v_mul_f64 v[2:3], v[114:115], v[112:113]
	v_fma_f64 v[112:113], v[114:115], v[110:111], -v[0:1]
	v_fma_f64 v[114:115], v[116:117], v[110:111], v[2:3]
	ds_read_b128 v[116:119], v44 offset:30240
	s_waitcnt lgkmcnt(0)
	v_mul_f64 v[0:1], v[118:119], v[92:93]
	v_mul_f64 v[2:3], v[116:117], v[92:93]
	v_fma_f64 v[116:117], v[116:117], v[90:91], -v[0:1]
	v_fma_f64 v[118:119], v[118:119], v[90:91], v[2:3]
	global_load_dwordx4 v[90:93], v[98:99], off offset:3216
	s_waitcnt vmcnt(0)
	v_mul_f64 v[0:1], v[122:123], v[92:93]
	v_mul_f64 v[2:3], v[120:121], v[92:93]
	v_fma_f64 v[120:121], v[120:121], v[90:91], -v[0:1]
	v_fma_f64 v[122:123], v[122:123], v[90:91], v[2:3]
	global_load_dwordx4 v[88:91], v[88:89], off offset:1504
	ds_read_b128 v[0:3], v44 offset:43200
	s_waitcnt vmcnt(0) lgkmcnt(0)
	v_mul_f64 v[4:5], v[2:3], v[90:91]
	v_mul_f64 v[6:7], v[0:1], v[90:91]
	v_fma_f64 v[8:9], v[0:1], v[88:89], -v[4:5]
	v_fma_f64 v[10:11], v[2:3], v[88:89], v[6:7]
	global_load_dwordx4 v[88:91], v[96:97], off offset:3888
	ds_read_b128 v[96:99], v44 offset:49680
	s_waitcnt vmcnt(0) lgkmcnt(0)
	v_mul_f64 v[0:1], v[98:99], v[90:91]
	v_mul_f64 v[2:3], v[96:97], v[90:91]
	v_fma_f64 v[90:91], v[96:97], v[88:89], -v[0:1]
	global_load_dwordx4 v[94:97], v[94:95], off offset:2176
	v_fma_f64 v[92:93], v[98:99], v[88:89], v[2:3]
	ds_read_b128 v[0:3], v44 offset:56160
	s_waitcnt vmcnt(0) lgkmcnt(0)
	v_mul_f64 v[4:5], v[2:3], v[96:97]
	v_mul_f64 v[6:7], v[0:1], v[96:97]
	v_fma_f64 v[4:5], v[0:1], v[94:95], -v[4:5]
	v_add_co_u32_e32 v0, vcc, s0, v45
	v_addc_co_u32_e32 v1, vcc, 0, v46, vcc
	v_fma_f64 v[6:7], v[2:3], v[94:95], v[6:7]
	global_load_dwordx4 v[94:97], v[0:1], off offset:464
	ds_read_b128 v[0:3], v44 offset:62640
	s_waitcnt vmcnt(0) lgkmcnt(0)
	v_mul_f64 v[45:46], v[2:3], v[96:97]
	v_mul_f64 v[88:89], v[0:1], v[96:97]
	v_fma_f64 v[0:1], v[0:1], v[94:95], -v[45:46]
	v_fma_f64 v[2:3], v[2:3], v[94:95], v[88:89]
	ds_write_b128 v44, v[132:135]
	ds_write_b128 v44, v[128:131] offset:6480
	ds_write_b128 v44, v[124:127] offset:12960
	ds_write_b128 v44, v[75:78] offset:19440
	ds_write_b128 v44, v[71:74] offset:25920
	ds_write_b128 v44, v[67:70] offset:32400
	ds_write_b128 v44, v[63:66] offset:38880
	ds_write_b128 v44, v[59:62] offset:45360
	ds_write_b128 v44, v[100:103] offset:51840
	ds_write_b128 v44, v[55:58] offset:58320
	ds_write_b128 v44, v[51:54] offset:2160
	ds_write_b128 v44, v[47:50] offset:8640
	ds_write_b128 v44, v[40:43] offset:15120
	ds_write_b128 v44, v[36:39] offset:21600
	ds_write_b128 v44, v[32:35] offset:28080
	ds_write_b128 v44, v[28:31] offset:34560
	ds_write_b128 v44, v[24:27] offset:41040
	ds_write_b128 v44, v[20:23] offset:47520
	ds_write_b128 v44, v[16:19] offset:54000
	ds_write_b128 v44, v[12:15] offset:60480
	ds_write_b128 v44, v[80:83] offset:4320
	ds_write_b128 v44, v[84:87] offset:10800
	ds_write_b128 v44, v[106:109] offset:17280
	ds_write_b128 v44, v[112:115] offset:23760
	ds_write_b128 v44, v[116:119] offset:30240
	ds_write_b128 v44, v[120:123] offset:36720
	ds_write_b128 v44, v[8:11] offset:43200
	ds_write_b128 v44, v[90:93] offset:49680
	ds_write_b128 v44, v[4:7] offset:56160
	ds_write_b128 v44, v[0:3] offset:62640
	s_waitcnt lgkmcnt(0)
	s_barrier
	ds_read_b128 v[0:3], v44
	ds_read_b128 v[4:7], v44 offset:12960
	ds_read_b128 v[8:11], v44 offset:25920
	s_waitcnt lgkmcnt(1)
	v_add_f64 v[12:13], v[0:1], v[4:5]
	s_waitcnt lgkmcnt(0)
	v_add_f64 v[24:25], v[4:5], -v[8:9]
	v_add_f64 v[26:27], v[8:9], -v[4:5]
	;; [unrolled: 1-line block ×4, first 2 shown]
	v_add_f64 v[16:17], v[12:13], v[8:9]
	v_add_f64 v[12:13], v[2:3], v[6:7]
	v_add_f64 v[18:19], v[12:13], v[10:11]
	ds_read_b128 v[12:15], v44 offset:38880
	s_waitcnt lgkmcnt(0)
	v_add_f64 v[20:21], v[8:9], v[12:13]
	v_add_f64 v[22:23], v[10:11], -v[14:15]
	v_add_f64 v[28:29], v[10:11], v[14:15]
	v_add_f64 v[30:31], v[8:9], -v[12:13]
	ds_read_b128 v[8:11], v44 offset:51840
	v_fma_f64 v[20:21], v[20:21], -0.5, v[0:1]
	s_waitcnt lgkmcnt(0)
	v_add_f64 v[36:37], v[6:7], -v[10:11]
	v_add_f64 v[38:39], v[4:5], v[8:9]
	v_add_f64 v[40:41], v[4:5], -v[8:9]
	v_add_f64 v[42:43], v[6:7], v[10:11]
	v_add_f64 v[4:5], v[16:17], v[12:13]
	;; [unrolled: 1-line block ×3, first 2 shown]
	v_add_f64 v[45:46], v[8:9], -v[12:13]
	v_add_f64 v[47:48], v[12:13], -v[8:9]
	;; [unrolled: 1-line block ×4, first 2 shown]
	v_fma_f64 v[28:29], v[28:29], -0.5, v[2:3]
	v_fma_f64 v[2:3], v[42:43], -0.5, v[2:3]
	v_add_f64 v[53:54], v[4:5], v[8:9]
	v_add_f64 v[55:56], v[6:7], v[10:11]
	ds_read_b128 v[4:7], v44 offset:6480
	ds_read_b128 v[8:11], v44 offset:19440
	;; [unrolled: 1-line block ×3, first 2 shown]
	v_fma_f64 v[0:1], v[38:39], -0.5, v[0:1]
	v_add_f64 v[26:27], v[26:27], v[47:48]
	s_waitcnt lgkmcnt(1)
	v_add_f64 v[16:17], v[4:5], v[8:9]
	s_waitcnt lgkmcnt(0)
	v_add_f64 v[65:66], v[8:9], -v[12:13]
	v_add_f64 v[67:68], v[12:13], -v[8:9]
	;; [unrolled: 1-line block ×4, first 2 shown]
	v_add_f64 v[57:58], v[16:17], v[12:13]
	v_add_f64 v[16:17], v[6:7], v[10:11]
	;; [unrolled: 1-line block ×3, first 2 shown]
	ds_read_b128 v[16:19], v44 offset:45360
	s_waitcnt lgkmcnt(0)
	v_add_f64 v[69:70], v[14:15], v[18:19]
	v_add_f64 v[57:58], v[57:58], v[16:17]
	;; [unrolled: 1-line block ×3, first 2 shown]
	v_add_f64 v[63:64], v[14:15], -v[18:19]
	v_add_f64 v[71:72], v[12:13], -v[16:17]
	ds_read_b128 v[12:15], v44 offset:58320
	v_add_f64 v[59:60], v[59:60], v[18:19]
	v_fma_f64 v[42:43], v[69:70], -0.5, v[6:7]
	s_waitcnt lgkmcnt(0)
	v_add_f64 v[79:80], v[8:9], v[12:13]
	v_add_f64 v[8:9], v[8:9], -v[12:13]
	v_add_f64 v[81:82], v[12:13], -v[16:17]
	;; [unrolled: 1-line block ×3, first 2 shown]
	v_add_f64 v[12:13], v[57:58], v[12:13]
	v_add_f64 v[77:78], v[10:11], -v[14:15]
	v_add_f64 v[10:11], v[10:11], v[14:15]
	v_add_f64 v[83:84], v[14:15], -v[18:19]
	v_fma_f64 v[38:39], v[61:62], -0.5, v[4:5]
	v_add_f64 v[18:19], v[18:19], -v[14:15]
	v_add_f64 v[14:15], v[59:60], v[14:15]
	v_fma_f64 v[4:5], v[79:80], -0.5, v[4:5]
	v_add_f64 v[120:121], v[53:54], v[12:13]
	v_add_f64 v[116:117], v[53:54], -v[12:13]
	v_add_f64 v[12:13], v[32:33], v[49:50]
	v_fma_f64 v[32:33], v[8:9], s[16:17], v[42:43]
	v_fma_f64 v[6:7], v[10:11], -0.5, v[6:7]
	v_add_f64 v[10:11], v[24:25], v[45:46]
	v_add_f64 v[24:25], v[73:74], v[83:84]
	v_fma_f64 v[45:46], v[77:78], s[22:23], v[38:39]
	v_add_f64 v[122:123], v[55:56], v[14:15]
	v_add_f64 v[118:119], v[55:56], -v[14:15]
	v_add_f64 v[14:15], v[65:66], v[81:82]
	v_fma_f64 v[32:33], v[71:72], s[18:19], v[32:33]
	v_fma_f64 v[53:54], v[40:41], s[16:17], v[28:29]
	v_add_f64 v[18:19], v[75:76], v[18:19]
	v_add_f64 v[16:17], v[67:68], v[16:17]
	v_fma_f64 v[45:46], v[63:64], s[24:25], v[45:46]
	v_fma_f64 v[32:33], v[24:25], s[20:21], v[32:33]
	v_fma_f64 v[53:54], v[30:31], s[18:19], v[53:54]
	v_fma_f64 v[45:46], v[14:15], s[20:21], v[45:46]
	v_mul_f64 v[49:50], v[32:33], s[24:25]
	v_fma_f64 v[53:54], v[12:13], s[20:21], v[53:54]
	v_fma_f64 v[49:50], v[45:46], s[30:31], v[49:50]
	v_mul_f64 v[45:46], v[45:46], s[18:19]
	v_fma_f64 v[32:33], v[32:33], s[30:31], v[45:46]
	v_fma_f64 v[45:46], v[36:37], s[22:23], v[20:21]
	v_add_f64 v[110:111], v[53:54], v[32:33]
	v_fma_f64 v[45:46], v[22:23], s[24:25], v[45:46]
	v_add_f64 v[114:115], v[53:54], -v[32:33]
	v_add_f64 v[32:33], v[34:35], v[51:52]
	v_fma_f64 v[34:35], v[71:72], s[22:23], v[6:7]
	v_fma_f64 v[6:7], v[71:72], s[16:17], v[6:7]
	;; [unrolled: 1-line block ×5, first 2 shown]
	v_add_f64 v[108:109], v[45:46], v[49:50]
	v_add_f64 v[112:113], v[45:46], -v[49:50]
	v_fma_f64 v[45:46], v[63:64], s[16:17], v[4:5]
	v_fma_f64 v[34:35], v[18:19], s[20:21], v[34:35]
	;; [unrolled: 1-line block ×7, first 2 shown]
	v_mul_f64 v[47:48], v[34:35], s[22:23]
	v_mul_f64 v[34:35], v[34:35], s[20:21]
	v_fma_f64 v[4:5], v[77:78], s[18:19], v[4:5]
	v_fma_f64 v[49:50], v[40:41], s[18:19], v[49:50]
	;; [unrolled: 1-line block ×5, first 2 shown]
	v_mul_f64 v[16:17], v[6:7], s[22:23]
	v_mul_f64 v[6:7], v[6:7], s[28:29]
	v_fma_f64 v[2:3], v[32:33], s[20:21], v[2:3]
	v_fma_f64 v[49:50], v[32:33], s[20:21], v[49:50]
	;; [unrolled: 1-line block ×9, first 2 shown]
	v_add_f64 v[102:103], v[49:50], v[34:35]
	v_fma_f64 v[45:46], v[36:37], s[24:25], v[45:46]
	v_fma_f64 v[0:1], v[36:37], s[18:19], v[0:1]
	v_add_f64 v[106:107], v[49:50], -v[34:35]
	v_add_f64 v[94:95], v[2:3], v[4:5]
	v_add_f64 v[98:99], v[2:3], -v[4:5]
	v_fma_f64 v[2:3], v[36:37], s[16:17], v[20:21]
	v_fma_f64 v[4:5], v[40:41], s[22:23], v[28:29]
	;; [unrolled: 1-line block ×8, first 2 shown]
	v_add_f64 v[100:101], v[45:46], v[47:48]
	v_add_f64 v[92:93], v[0:1], v[16:17]
	v_add_f64 v[96:97], v[0:1], -v[16:17]
	v_fma_f64 v[0:1], v[8:9], s[22:23], v[42:43]
	v_add_f64 v[104:105], v[45:46], -v[47:48]
	v_fma_f64 v[2:3], v[10:11], s[20:21], v[2:3]
	v_fma_f64 v[4:5], v[12:13], s[20:21], v[4:5]
	v_fma_f64 v[0:1], v[71:72], s[24:25], v[0:1]
	v_fma_f64 v[0:1], v[24:25], s[20:21], v[0:1]
	v_mul_f64 v[8:9], v[0:1], s[24:25]
	v_mul_f64 v[0:1], v[0:1], s[26:27]
	v_fma_f64 v[8:9], v[6:7], s[26:27], v[8:9]
	v_fma_f64 v[0:1], v[6:7], s[18:19], v[0:1]
	v_add_f64 v[84:85], v[2:3], v[8:9]
	v_add_f64 v[86:87], v[4:5], v[0:1]
	v_add_f64 v[88:89], v[2:3], -v[8:9]
	v_add_f64 v[90:91], v[4:5], -v[0:1]
	ds_read_b128 v[72:75], v44 offset:2160
	ds_read_b128 v[68:71], v44 offset:8640
	;; [unrolled: 1-line block ×20, first 2 shown]
	s_waitcnt lgkmcnt(0)
	s_barrier
	ds_write_b128 v225, v[120:123]
	ds_write_b128 v225, v[108:111] offset:16
	ds_write_b128 v225, v[100:103] offset:32
	;; [unrolled: 1-line block ×9, first 2 shown]
	v_add_f64 v[53:54], v[72:73], v[4:5]
	v_add_f64 v[84:85], v[74:75], v[6:7]
	;; [unrolled: 1-line block ×3, first 2 shown]
	v_add_f64 v[88:89], v[2:3], -v[10:11]
	v_add_f64 v[90:91], v[4:5], -v[0:1]
	;; [unrolled: 1-line block ×3, first 2 shown]
	v_add_f64 v[94:95], v[2:3], v[10:11]
	v_add_f64 v[96:97], v[0:1], -v[8:9]
	v_add_f64 v[53:54], v[53:54], v[0:1]
	v_add_f64 v[84:85], v[84:85], v[2:3]
	v_add_f64 v[98:99], v[6:7], -v[2:3]
	v_add_f64 v[100:101], v[2:3], -v[6:7]
	;; [unrolled: 1-line block ×3, first 2 shown]
	v_add_f64 v[0:1], v[4:5], v[12:13]
	v_add_f64 v[104:105], v[4:5], -v[12:13]
	v_add_f64 v[2:3], v[6:7], v[14:15]
	v_add_f64 v[4:5], v[53:54], v[8:9]
	v_add_f64 v[6:7], v[84:85], v[10:11]
	v_add_f64 v[53:54], v[12:13], -v[8:9]
	v_add_f64 v[84:85], v[8:9], -v[12:13]
	;; [unrolled: 1-line block ×4, first 2 shown]
	v_add_f64 v[10:11], v[68:69], v[20:21]
	v_add_f64 v[114:115], v[18:19], v[78:79]
	;; [unrolled: 1-line block ×6, first 2 shown]
	v_add_f64 v[108:109], v[18:19], -v[78:79]
	v_add_f64 v[110:111], v[20:21], -v[16:17]
	v_add_f64 v[10:11], v[10:11], v[16:17]
	v_add_f64 v[112:113], v[16:17], -v[20:21]
	v_add_f64 v[116:117], v[16:17], -v[76:77]
	v_add_f64 v[12:13], v[12:13], v[18:19]
	v_add_f64 v[16:17], v[22:23], -v[18:19]
	v_add_f64 v[18:19], v[18:19], -v[22:23]
	;; [unrolled: 1-line block ×3, first 2 shown]
	v_add_f64 v[120:121], v[20:21], v[24:25]
	v_add_f64 v[10:11], v[10:11], v[76:77]
	v_add_f64 v[122:123], v[20:21], -v[24:25]
	v_add_f64 v[20:21], v[22:23], v[26:27]
	v_add_f64 v[12:13], v[12:13], v[78:79]
	v_add_f64 v[22:23], v[24:25], -v[76:77]
	v_add_f64 v[76:77], v[76:77], -v[24:25]
	v_fma_f64 v[86:87], v[86:87], -0.5, v[72:73]
	v_add_f64 v[124:125], v[26:27], -v[78:79]
	v_add_f64 v[10:11], v[10:11], v[24:25]
	v_fma_f64 v[24:25], v[0:1], -0.5, v[72:73]
	v_fma_f64 v[72:73], v[94:95], -0.5, v[74:75]
	;; [unrolled: 1-line block ×3, first 2 shown]
	v_add_f64 v[78:79], v[78:79], -v[26:27]
	v_add_f64 v[12:13], v[12:13], v[26:27]
	v_fma_f64 v[26:27], v[2:3], -0.5, v[74:75]
	v_fma_f64 v[74:75], v[14:15], -0.5, v[68:69]
	v_add_f64 v[53:54], v[90:91], v[53:54]
	v_add_f64 v[90:91], v[98:99], v[8:9]
	;; [unrolled: 1-line block ×3, first 2 shown]
	v_fma_f64 v[8:9], v[122:123], s[16:17], v[94:95]
	v_add_f64 v[4:5], v[4:5], -v[10:11]
	v_add_f64 v[98:99], v[110:111], v[22:23]
	v_add_f64 v[110:111], v[16:17], v[124:125]
	v_fma_f64 v[10:11], v[118:119], s[22:23], v[74:75]
	v_add_f64 v[2:3], v[6:7], v[12:13]
	v_add_f64 v[6:7], v[6:7], -v[12:13]
	v_fma_f64 v[70:71], v[20:21], -0.5, v[70:71]
	v_fma_f64 v[8:9], v[116:117], s[18:19], v[8:9]
	v_fma_f64 v[68:69], v[120:121], -0.5, v[68:69]
	v_add_f64 v[78:79], v[18:19], v[78:79]
	v_add_f64 v[76:77], v[112:113], v[76:77]
	v_fma_f64 v[10:11], v[108:109], s[24:25], v[10:11]
	v_add_f64 v[84:85], v[92:93], v[84:85]
	v_add_f64 v[92:93], v[100:101], v[106:107]
	v_fma_f64 v[74:75], v[118:119], s[16:17], v[74:75]
	v_fma_f64 v[8:9], v[110:111], s[20:21], v[8:9]
	;; [unrolled: 1-line block ×5, first 2 shown]
	v_mul_f64 v[12:13], v[8:9], s[24:25]
	v_fma_f64 v[18:19], v[118:119], s[24:25], v[18:19]
	v_fma_f64 v[12:13], v[10:11], s[30:31], v[12:13]
	v_mul_f64 v[10:11], v[10:11], s[18:19]
	v_fma_f64 v[18:19], v[76:77], s[20:21], v[18:19]
	v_fma_f64 v[14:15], v[8:9], s[30:31], v[10:11]
	;; [unrolled: 1-line block ×10, first 2 shown]
	v_add_f64 v[8:9], v[16:17], v[12:13]
	v_add_f64 v[12:13], v[16:17], -v[12:13]
	v_fma_f64 v[16:17], v[116:117], s[22:23], v[70:71]
	v_add_f64 v[10:11], v[20:21], v[14:15]
	v_add_f64 v[14:15], v[20:21], -v[14:15]
	v_fma_f64 v[16:17], v[122:123], s[18:19], v[16:17]
	v_fma_f64 v[16:17], v[78:79], s[20:21], v[16:17]
	v_mul_f64 v[20:21], v[16:17], s[22:23]
	v_mul_f64 v[16:17], v[16:17], s[20:21]
	v_fma_f64 v[20:21], v[18:19], s[20:21], v[20:21]
	v_fma_f64 v[22:23], v[18:19], s[16:17], v[16:17]
	;; [unrolled: 1-line block ×13, first 2 shown]
	v_add_f64 v[16:17], v[100:101], v[20:21]
	v_add_f64 v[20:21], v[100:101], -v[20:21]
	v_fma_f64 v[24:25], v[104:105], s[24:25], v[24:25]
	v_fma_f64 v[26:27], v[118:119], s[18:19], v[26:27]
	v_add_f64 v[18:19], v[106:107], v[22:23]
	v_add_f64 v[22:23], v[106:107], -v[22:23]
	v_fma_f64 v[92:93], v[92:93], s[20:21], v[24:25]
	v_fma_f64 v[24:25], v[116:117], s[16:17], v[70:71]
	;; [unrolled: 1-line block ×9, first 2 shown]
	v_mul_f64 v[68:69], v[24:25], s[22:23]
	v_fma_f64 v[78:79], v[88:89], s[18:19], v[78:79]
	v_mul_f64 v[24:25], v[24:25], s[28:29]
	v_fma_f64 v[68:69], v[26:27], s[28:29], v[68:69]
	v_fma_f64 v[53:54], v[53:54], s[20:21], v[78:79]
	;; [unrolled: 1-line block ×4, first 2 shown]
	v_mul_f64 v[74:75], v[76:77], s[24:25]
	v_mul_f64 v[76:77], v[76:77], s[26:27]
	v_fma_f64 v[70:71], v[26:27], s[16:17], v[24:25]
	v_add_f64 v[24:25], v[84:85], v[68:69]
	v_add_f64 v[68:69], v[84:85], -v[68:69]
	v_fma_f64 v[84:85], v[72:73], s[26:27], v[74:75]
	v_fma_f64 v[86:87], v[72:73], s[18:19], v[76:77]
	v_add_f64 v[26:27], v[92:93], v[70:71]
	v_add_f64 v[70:71], v[92:93], -v[70:71]
	v_add_f64 v[72:73], v[53:54], v[84:85]
	v_add_f64 v[74:75], v[78:79], v[86:87]
	v_add_f64 v[76:77], v[53:54], -v[84:85]
	v_add_f64 v[78:79], v[78:79], -v[86:87]
	ds_write_b128 v226, v[0:3]
	ds_write_b128 v226, v[8:11] offset:16
	ds_write_b128 v226, v[16:19] offset:32
	;; [unrolled: 1-line block ×9, first 2 shown]
	v_add_f64 v[0:1], v[64:65], v[32:33]
	v_add_f64 v[2:3], v[66:67], v[34:35]
	v_add_f64 v[8:9], v[32:33], -v[36:37]
	v_add_f64 v[16:17], v[36:37], -v[32:33]
	v_add_f64 v[12:13], v[32:33], v[28:29]
	v_add_f64 v[32:33], v[32:33], -v[28:29]
	v_add_f64 v[20:21], v[28:29], -v[40:41]
	;; [unrolled: 1-line block ×3, first 2 shown]
	v_add_f64 v[0:1], v[0:1], v[36:37]
	v_add_f64 v[2:3], v[2:3], v[38:39]
	v_add_f64 v[53:54], v[38:39], -v[42:43]
	v_add_f64 v[6:7], v[38:39], v[42:43]
	v_add_f64 v[10:11], v[34:35], -v[38:39]
	v_add_f64 v[18:19], v[38:39], -v[34:35]
	;; [unrolled: 1-line block ×3, first 2 shown]
	v_add_f64 v[14:15], v[34:35], v[30:31]
	v_add_f64 v[0:1], v[0:1], v[40:41]
	;; [unrolled: 1-line block ×3, first 2 shown]
	v_add_f64 v[24:25], v[30:31], -v[42:43]
	v_add_f64 v[26:27], v[42:43], -v[30:31]
	v_add_f64 v[70:71], v[47:48], v[58:59]
	v_add_f64 v[4:5], v[36:37], v[40:41]
	v_add_f64 v[36:37], v[36:37], -v[40:41]
	v_add_f64 v[34:35], v[45:46], v[56:57]
	v_add_f64 v[28:29], v[0:1], v[28:29]
	;; [unrolled: 1-line block ×5, first 2 shown]
	v_add_f64 v[40:41], v[47:48], -v[58:59]
	v_add_f64 v[42:43], v[49:50], -v[45:46]
	;; [unrolled: 1-line block ×3, first 2 shown]
	v_add_f64 v[76:77], v[49:50], v[60:61]
	v_add_f64 v[49:50], v[49:50], -v[60:61]
	v_add_f64 v[0:1], v[0:1], v[45:46]
	v_add_f64 v[45:46], v[45:46], -v[56:57]
	;; [unrolled: 2-line block ×3, first 2 shown]
	v_add_f64 v[84:85], v[62:63], -v[58:59]
	v_fma_f64 v[70:71], v[70:71], -0.5, v[82:83]
	v_add_f64 v[72:73], v[51:52], -v[47:48]
	v_add_f64 v[47:48], v[47:48], -v[51:52]
	v_add_f64 v[0:1], v[0:1], v[56:57]
	v_add_f64 v[55:56], v[56:57], -v[60:61]
	v_add_f64 v[2:3], v[2:3], v[58:59]
	v_add_f64 v[57:58], v[58:59], -v[62:63]
	v_add_f64 v[74:75], v[51:52], -v[62:63]
	v_add_f64 v[51:52], v[51:52], v[62:63]
	v_fma_f64 v[86:87], v[4:5], -0.5, v[64:65]
	v_fma_f64 v[34:35], v[34:35], -0.5, v[80:81]
	v_add_f64 v[59:60], v[0:1], v[60:61]
	v_fma_f64 v[88:89], v[6:7], -0.5, v[66:67]
	v_add_f64 v[61:62], v[2:3], v[62:63]
	v_add_f64 v[72:73], v[72:73], v[84:85]
	v_add_f64 v[42:43], v[42:43], v[78:79]
	v_fma_f64 v[63:64], v[12:13], -0.5, v[64:65]
	v_fma_f64 v[65:66], v[14:15], -0.5, v[66:67]
	;; [unrolled: 1-line block ×3, first 2 shown]
	v_add_f64 v[0:1], v[28:29], v[59:60]
	v_add_f64 v[4:5], v[28:29], -v[59:60]
	v_add_f64 v[59:60], v[8:9], v[20:21]
	v_fma_f64 v[8:9], v[49:50], s[16:17], v[70:71]
	v_add_f64 v[2:3], v[30:31], v[61:62]
	v_add_f64 v[6:7], v[30:31], -v[61:62]
	v_add_f64 v[61:62], v[10:11], v[24:25]
	v_fma_f64 v[10:11], v[74:75], s[22:23], v[34:35]
	v_fma_f64 v[76:77], v[76:77], -0.5, v[80:81]
	v_add_f64 v[26:27], v[18:19], v[26:27]
	v_add_f64 v[30:31], v[47:48], v[57:58]
	v_fma_f64 v[8:9], v[45:46], s[18:19], v[8:9]
	v_add_f64 v[28:29], v[68:69], v[55:56]
	v_fma_f64 v[34:35], v[74:75], s[16:17], v[34:35]
	v_fma_f64 v[10:11], v[40:41], s[24:25], v[10:11]
	;; [unrolled: 1-line block ×7, first 2 shown]
	v_mul_f64 v[12:13], v[8:9], s[24:25]
	v_fma_f64 v[18:19], v[28:29], s[20:21], v[18:19]
	v_fma_f64 v[12:13], v[10:11], s[30:31], v[12:13]
	v_mul_f64 v[10:11], v[10:11], s[18:19]
	v_fma_f64 v[14:15], v[8:9], s[30:31], v[10:11]
	v_fma_f64 v[10:11], v[32:33], s[16:17], v[88:89]
	;; [unrolled: 1-line block ×7, first 2 shown]
	v_add_f64 v[10:11], v[24:25], v[14:15]
	v_add_f64 v[14:15], v[24:25], -v[14:15]
	v_add_f64 v[24:25], v[16:17], v[22:23]
	v_fma_f64 v[16:17], v[45:46], s[22:23], v[51:52]
	v_add_f64 v[8:9], v[20:21], v[12:13]
	v_add_f64 v[12:13], v[20:21], -v[12:13]
	v_fma_f64 v[16:17], v[49:50], s[18:19], v[16:17]
	v_fma_f64 v[16:17], v[30:31], s[20:21], v[16:17]
	v_mul_f64 v[20:21], v[16:17], s[22:23]
	v_mul_f64 v[16:17], v[16:17], s[20:21]
	v_fma_f64 v[20:21], v[18:19], s[20:21], v[20:21]
	v_fma_f64 v[22:23], v[18:19], s[16:17], v[16:17]
	;; [unrolled: 1-line block ×8, first 2 shown]
	v_add_f64 v[16:17], v[47:48], v[20:21]
	v_add_f64 v[20:21], v[47:48], -v[20:21]
	v_fma_f64 v[47:48], v[53:54], s[22:23], v[63:64]
	v_add_f64 v[18:19], v[55:56], v[22:23]
	v_add_f64 v[22:23], v[55:56], -v[22:23]
	v_fma_f64 v[47:48], v[38:39], s[18:19], v[47:48]
	v_fma_f64 v[38:39], v[38:39], s[16:17], v[86:87]
	;; [unrolled: 1-line block ×18, first 2 shown]
	v_mul_f64 v[28:29], v[24:25], s[22:23]
	v_mul_f64 v[24:25], v[24:25], s[28:29]
	v_fma_f64 v[28:29], v[26:27], s[28:29], v[28:29]
	v_fma_f64 v[30:31], v[26:27], s[16:17], v[24:25]
	v_add_f64 v[24:25], v[47:48], v[28:29]
	v_add_f64 v[28:29], v[47:48], -v[28:29]
	v_fma_f64 v[47:48], v[49:50], s[22:23], v[70:71]
	v_add_f64 v[26:27], v[55:56], v[30:31]
	v_add_f64 v[30:31], v[55:56], -v[30:31]
	v_fma_f64 v[45:46], v[45:46], s[24:25], v[47:48]
	v_fma_f64 v[36:37], v[72:73], s[20:21], v[45:46]
	v_mul_f64 v[34:35], v[36:37], s[24:25]
	v_mul_f64 v[36:37], v[36:37], s[26:27]
	v_fma_f64 v[42:43], v[32:33], s[26:27], v[34:35]
	v_fma_f64 v[45:46], v[32:33], s[18:19], v[36:37]
	v_add_f64 v[32:33], v[38:39], v[42:43]
	v_add_f64 v[34:35], v[40:41], v[45:46]
	v_add_f64 v[36:37], v[38:39], -v[42:43]
	v_add_f64 v[38:39], v[40:41], -v[45:46]
	ds_write_b128 v168, v[0:3]
	ds_write_b128 v168, v[8:11] offset:16
	ds_write_b128 v168, v[16:19] offset:32
	;; [unrolled: 1-line block ×9, first 2 shown]
	s_waitcnt lgkmcnt(0)
	s_barrier
	ds_read_b128 v[0:3], v44 offset:12960
	buffer_load_dword v6, off, s[40:43], 0 offset:588 ; 4-byte Folded Reload
	buffer_load_dword v7, off, s[40:43], 0 offset:592 ; 4-byte Folded Reload
	;; [unrolled: 1-line block ×4, first 2 shown]
	s_waitcnt vmcnt(0) lgkmcnt(0)
	v_mul_f64 v[4:5], v[8:9], v[2:3]
	v_fma_f64 v[4:5], v[6:7], v[0:1], v[4:5]
	v_mul_f64 v[0:1], v[8:9], v[0:1]
	v_fma_f64 v[6:7], v[6:7], v[2:3], -v[0:1]
	ds_read_b128 v[0:3], v44 offset:25920
	buffer_load_dword v10, off, s[40:43], 0 offset:572 ; 4-byte Folded Reload
	buffer_load_dword v11, off, s[40:43], 0 offset:576 ; 4-byte Folded Reload
	;; [unrolled: 1-line block ×4, first 2 shown]
	s_waitcnt vmcnt(0) lgkmcnt(0)
	v_mul_f64 v[8:9], v[12:13], v[2:3]
	v_fma_f64 v[8:9], v[10:11], v[0:1], v[8:9]
	v_mul_f64 v[0:1], v[12:13], v[0:1]
	v_fma_f64 v[10:11], v[10:11], v[2:3], -v[0:1]
	ds_read_b128 v[0:3], v44 offset:38880
	buffer_load_dword v14, off, s[40:43], 0 offset:556 ; 4-byte Folded Reload
	buffer_load_dword v15, off, s[40:43], 0 offset:560 ; 4-byte Folded Reload
	;; [unrolled: 1-line block ×4, first 2 shown]
	s_waitcnt vmcnt(0) lgkmcnt(0)
	v_mul_f64 v[12:13], v[16:17], v[2:3]
	v_fma_f64 v[12:13], v[14:15], v[0:1], v[12:13]
	v_mul_f64 v[0:1], v[16:17], v[0:1]
	v_add_f64 v[38:39], v[8:9], -v[12:13]
	v_fma_f64 v[14:15], v[14:15], v[2:3], -v[0:1]
	ds_read_b128 v[0:3], v44 offset:51840
	buffer_load_dword v18, off, s[40:43], 0 offset:540 ; 4-byte Folded Reload
	buffer_load_dword v19, off, s[40:43], 0 offset:544 ; 4-byte Folded Reload
	;; [unrolled: 1-line block ×4, first 2 shown]
	v_add_f64 v[30:31], v[10:11], -v[14:15]
	s_waitcnt vmcnt(0) lgkmcnt(0)
	v_mul_f64 v[16:17], v[20:21], v[2:3]
	v_fma_f64 v[24:25], v[18:19], v[0:1], v[16:17]
	v_mul_f64 v[0:1], v[20:21], v[0:1]
	v_add_f64 v[36:37], v[4:5], -v[24:25]
	v_fma_f64 v[26:27], v[18:19], v[2:3], -v[0:1]
	ds_read_b128 v[0:3], v44 offset:15120
	buffer_load_dword v18, off, s[40:43], 0 offset:524 ; 4-byte Folded Reload
	buffer_load_dword v19, off, s[40:43], 0 offset:528 ; 4-byte Folded Reload
	;; [unrolled: 1-line block ×4, first 2 shown]
	v_add_f64 v[32:33], v[6:7], -v[26:27]
	s_waitcnt vmcnt(0) lgkmcnt(0)
	v_mul_f64 v[16:17], v[20:21], v[2:3]
	v_fma_f64 v[108:109], v[18:19], v[0:1], v[16:17]
	v_mul_f64 v[0:1], v[20:21], v[0:1]
	v_fma_f64 v[104:105], v[18:19], v[2:3], -v[0:1]
	ds_read_b128 v[0:3], v44 offset:28080
	buffer_load_dword v18, off, s[40:43], 0 offset:508 ; 4-byte Folded Reload
	buffer_load_dword v19, off, s[40:43], 0 offset:512 ; 4-byte Folded Reload
	buffer_load_dword v20, off, s[40:43], 0 offset:516 ; 4-byte Folded Reload
	buffer_load_dword v21, off, s[40:43], 0 offset:520 ; 4-byte Folded Reload
	s_waitcnt vmcnt(0) lgkmcnt(0)
	v_mul_f64 v[16:17], v[20:21], v[2:3]
	v_fma_f64 v[114:115], v[18:19], v[0:1], v[16:17]
	v_mul_f64 v[0:1], v[20:21], v[0:1]
	v_fma_f64 v[106:107], v[18:19], v[2:3], -v[0:1]
	ds_read_b128 v[0:3], v44 offset:41040
	buffer_load_dword v18, off, s[40:43], 0 offset:492 ; 4-byte Folded Reload
	buffer_load_dword v19, off, s[40:43], 0 offset:496 ; 4-byte Folded Reload
	buffer_load_dword v20, off, s[40:43], 0 offset:500 ; 4-byte Folded Reload
	buffer_load_dword v21, off, s[40:43], 0 offset:504 ; 4-byte Folded Reload
	;; [unrolled: 10-line block ×19, first 2 shown]
	s_waitcnt vmcnt(0) lgkmcnt(0)
	v_mul_f64 v[16:17], v[20:21], v[2:3]
	v_fma_f64 v[54:55], v[18:19], v[0:1], v[16:17]
	v_mul_f64 v[0:1], v[20:21], v[0:1]
	v_add_f64 v[16:17], v[8:9], v[12:13]
	v_fma_f64 v[52:53], v[18:19], v[2:3], -v[0:1]
	v_add_f64 v[0:1], v[4:5], -v[8:9]
	v_add_f64 v[2:3], v[24:25], -v[12:13]
	v_add_f64 v[18:19], v[10:11], v[14:15]
	v_add_f64 v[20:21], v[0:1], v[2:3]
	v_add_f64 v[0:1], v[6:7], -v[10:11]
	v_add_f64 v[2:3], v[26:27], -v[14:15]
	v_add_f64 v[22:23], v[0:1], v[2:3]
	ds_read_b128 v[0:3], v44
	s_waitcnt lgkmcnt(0)
	v_fma_f64 v[28:29], v[16:17], -0.5, v[0:1]
	v_fma_f64 v[34:35], v[18:19], -0.5, v[2:3]
	v_fma_f64 v[16:17], v[32:33], s[22:23], v[28:29]
	v_fma_f64 v[18:19], v[36:37], s[16:17], v[34:35]
	;; [unrolled: 1-line block ×12, first 2 shown]
	v_add_f64 v[28:29], v[4:5], v[24:25]
	v_add_f64 v[34:35], v[6:7], v[26:27]
	v_fma_f64 v[28:29], v[28:29], -0.5, v[0:1]
	v_fma_f64 v[34:35], v[34:35], -0.5, v[2:3]
	v_add_f64 v[0:1], v[0:1], v[4:5]
	v_add_f64 v[2:3], v[2:3], v[6:7]
	v_add_f64 v[4:5], v[8:9], -v[4:5]
	v_fma_f64 v[122:123], v[30:31], s[22:23], v[28:29]
	v_add_f64 v[0:1], v[0:1], v[8:9]
	v_add_f64 v[2:3], v[2:3], v[10:11]
	v_fma_f64 v[8:9], v[30:31], s[16:17], v[28:29]
	v_add_f64 v[0:1], v[0:1], v[12:13]
	v_add_f64 v[2:3], v[2:3], v[14:15]
	v_add_f64 v[12:13], v[12:13], -v[24:25]
	v_fma_f64 v[8:9], v[32:33], s[24:25], v[8:9]
	v_add_f64 v[28:29], v[0:1], v[24:25]
	v_add_f64 v[30:31], v[2:3], v[26:27]
	v_add_f64 v[0:1], v[10:11], -v[6:7]
	v_add_f64 v[2:3], v[14:15], -v[26:27]
	v_fma_f64 v[6:7], v[38:39], s[22:23], v[34:35]
	v_fma_f64 v[10:11], v[38:39], s[16:17], v[34:35]
	v_add_f64 v[4:5], v[4:5], v[12:13]
	v_fma_f64 v[12:13], v[32:33], s[18:19], v[122:123]
	v_add_f64 v[0:1], v[0:1], v[2:3]
	v_fma_f64 v[2:3], v[36:37], s[18:19], v[6:7]
	v_fma_f64 v[6:7], v[36:37], s[24:25], v[10:11]
	;; [unrolled: 1-line block ×6, first 2 shown]
	ds_read_b128 v[24:27], v44 offset:2160
	ds_read_b128 v[12:15], v44 offset:4320
	;; [unrolled: 1-line block ×5, first 2 shown]
	s_waitcnt lgkmcnt(0)
	s_barrier
	ds_write_b128 v239, v[28:31]
	ds_write_b128 v239, v[16:19] offset:160
	ds_write_b128 v239, v[36:39] offset:320
	;; [unrolled: 1-line block ×4, first 2 shown]
	v_add_f64 v[16:17], v[114:115], -v[108:109]
	v_add_f64 v[18:19], v[112:113], -v[118:119]
	;; [unrolled: 1-line block ×6, first 2 shown]
	v_add_f64 v[20:21], v[16:17], v[18:19]
	v_add_f64 v[16:17], v[106:107], -v[104:105]
	v_add_f64 v[18:19], v[110:111], -v[116:117]
	v_add_f64 v[22:23], v[16:17], v[18:19]
	v_add_f64 v[18:19], v[104:105], v[116:117]
	;; [unrolled: 1-line block ×3, first 2 shown]
	v_fma_f64 v[34:35], v[18:19], -0.5, v[26:27]
	v_fma_f64 v[28:29], v[16:17], -0.5, v[24:25]
	v_fma_f64 v[18:19], v[36:37], s[22:23], v[34:35]
	v_fma_f64 v[34:35], v[36:37], s[16:17], v[34:35]
	;; [unrolled: 1-line block ×10, first 2 shown]
	v_add_f64 v[34:35], v[106:107], v[110:111]
	v_fma_f64 v[16:17], v[20:21], s[20:21], v[16:17]
	v_fma_f64 v[20:21], v[20:21], s[20:21], v[28:29]
	v_add_f64 v[28:29], v[114:115], v[112:113]
	v_fma_f64 v[34:35], v[34:35], -0.5, v[26:27]
	v_add_f64 v[26:27], v[26:27], v[104:105]
	v_add_f64 v[104:105], v[104:105], -v[106:107]
	v_fma_f64 v[28:29], v[28:29], -0.5, v[24:25]
	v_add_f64 v[24:25], v[24:25], v[108:109]
	v_add_f64 v[108:109], v[108:109], -v[114:115]
	v_add_f64 v[26:27], v[26:27], v[106:107]
	v_add_f64 v[106:107], v[116:117], -v[110:111]
	v_add_f64 v[24:25], v[24:25], v[114:115]
	v_fma_f64 v[114:115], v[32:33], s[22:23], v[28:29]
	v_fma_f64 v[28:29], v[32:33], s[16:17], v[28:29]
	v_add_f64 v[32:33], v[118:119], -v[112:113]
	v_add_f64 v[26:27], v[26:27], v[110:111]
	v_fma_f64 v[110:111], v[38:39], s[16:17], v[34:35]
	v_fma_f64 v[34:35], v[38:39], s[22:23], v[34:35]
	v_add_f64 v[24:25], v[24:25], v[112:113]
	v_fma_f64 v[38:39], v[30:31], s[24:25], v[114:115]
	v_add_f64 v[104:105], v[104:105], v[106:107]
	v_add_f64 v[32:33], v[108:109], v[32:33]
	v_fma_f64 v[108:109], v[30:31], s[18:19], v[28:29]
	v_add_f64 v[26:27], v[26:27], v[116:117]
	v_fma_f64 v[30:31], v[36:37], s[18:19], v[110:111]
	v_fma_f64 v[34:35], v[36:37], s[24:25], v[34:35]
	buffer_load_dword v36, off, s[40:43], 0 offset:1588 ; 4-byte Folded Reload
	v_add_f64 v[24:25], v[24:25], v[118:119]
	v_fma_f64 v[28:29], v[32:33], s[20:21], v[38:39]
	v_fma_f64 v[32:33], v[32:33], s[20:21], v[108:109]
	;; [unrolled: 1-line block ×4, first 2 shown]
	s_waitcnt vmcnt(0)
	ds_write_b128 v36, v[24:27]
	ds_write_b128 v36, v[28:31] offset:160
	ds_write_b128 v36, v[16:19] offset:320
	ds_write_b128 v36, v[20:23] offset:480
	ds_write_b128 v36, v[32:35] offset:640
	v_add_f64 v[16:17], v[96:97], -v[90:91]
	v_add_f64 v[18:19], v[98:99], -v[102:103]
	;; [unrolled: 1-line block ×7, first 2 shown]
	v_add_f64 v[20:21], v[16:17], v[18:19]
	v_add_f64 v[16:17], v[92:93], -v[88:89]
	v_add_f64 v[18:19], v[94:95], -v[100:101]
	v_add_f64 v[22:23], v[16:17], v[18:19]
	v_add_f64 v[16:17], v[90:91], v[102:103]
	;; [unrolled: 1-line block ×3, first 2 shown]
	v_fma_f64 v[24:25], v[16:17], -0.5, v[12:13]
	v_fma_f64 v[30:31], v[18:19], -0.5, v[14:15]
	v_fma_f64 v[16:17], v[26:27], s[16:17], v[24:25]
	v_fma_f64 v[18:19], v[32:33], s[22:23], v[30:31]
	;; [unrolled: 1-line block ×12, first 2 shown]
	v_add_f64 v[24:25], v[96:97], v[98:99]
	v_add_f64 v[30:31], v[92:93], v[94:95]
	v_fma_f64 v[24:25], v[24:25], -0.5, v[12:13]
	v_fma_f64 v[30:31], v[30:31], -0.5, v[14:15]
	v_add_f64 v[14:15], v[14:15], v[88:89]
	v_add_f64 v[88:89], v[88:89], -v[92:93]
	v_add_f64 v[12:13], v[12:13], v[90:91]
	v_add_f64 v[90:91], v[100:101], -v[94:95]
	v_fma_f64 v[38:39], v[28:29], s[22:23], v[24:25]
	v_fma_f64 v[24:25], v[28:29], s[16:17], v[24:25]
	v_add_f64 v[14:15], v[14:15], v[92:93]
	v_add_f64 v[28:29], v[102:103], -v[98:99]
	v_fma_f64 v[92:93], v[34:35], s[16:17], v[30:31]
	v_fma_f64 v[30:31], v[34:35], s[22:23], v[30:31]
	v_add_f64 v[12:13], v[12:13], v[96:97]
	v_fma_f64 v[34:35], v[26:27], s[24:25], v[38:39]
	v_add_f64 v[38:39], v[88:89], v[90:91]
	v_add_f64 v[14:15], v[14:15], v[94:95]
	;; [unrolled: 1-line block ×3, first 2 shown]
	v_fma_f64 v[36:37], v[26:27], s[18:19], v[24:25]
	v_fma_f64 v[26:27], v[32:33], s[18:19], v[92:93]
	v_fma_f64 v[30:31], v[32:33], s[24:25], v[30:31]
	buffer_load_dword v32, off, s[40:43], 0 offset:1360 ; 4-byte Folded Reload
	v_add_f64 v[12:13], v[12:13], v[98:99]
	v_add_f64 v[14:15], v[14:15], v[100:101]
	v_fma_f64 v[24:25], v[28:29], s[20:21], v[34:35]
	v_fma_f64 v[28:29], v[28:29], s[20:21], v[36:37]
	;; [unrolled: 1-line block ×4, first 2 shown]
	v_add_f64 v[36:37], v[72:73], -v[74:75]
	v_add_f64 v[12:13], v[12:13], v[102:103]
	s_waitcnt vmcnt(0)
	ds_write_b128 v32, v[12:15]
	ds_write_b128 v32, v[24:27] offset:160
	ds_write_b128 v32, v[16:19] offset:320
	;; [unrolled: 1-line block ×4, first 2 shown]
	v_add_f64 v[12:13], v[82:83], -v[76:77]
	v_add_f64 v[14:15], v[80:81], -v[86:87]
	;; [unrolled: 1-line block ×8, first 2 shown]
	v_add_f64 v[16:17], v[12:13], v[14:15]
	v_add_f64 v[12:13], v[74:75], -v[72:73]
	v_add_f64 v[14:15], v[78:79], -v[84:85]
	v_add_f64 v[18:19], v[12:13], v[14:15]
	v_add_f64 v[12:13], v[76:77], v[86:87]
	;; [unrolled: 1-line block ×3, first 2 shown]
	v_fma_f64 v[20:21], v[12:13], -0.5, v[8:9]
	v_fma_f64 v[26:27], v[14:15], -0.5, v[10:11]
	v_fma_f64 v[12:13], v[22:23], s[16:17], v[20:21]
	v_fma_f64 v[14:15], v[28:29], s[22:23], v[26:27]
	;; [unrolled: 1-line block ×12, first 2 shown]
	v_add_f64 v[20:21], v[82:83], v[80:81]
	v_add_f64 v[26:27], v[74:75], v[78:79]
	v_fma_f64 v[20:21], v[20:21], -0.5, v[8:9]
	v_fma_f64 v[26:27], v[26:27], -0.5, v[10:11]
	v_add_f64 v[10:11], v[10:11], v[72:73]
	v_add_f64 v[8:9], v[8:9], v[76:77]
	v_fma_f64 v[34:35], v[24:25], s[22:23], v[20:21]
	v_fma_f64 v[20:21], v[24:25], s[16:17], v[20:21]
	v_add_f64 v[24:25], v[86:87], -v[80:81]
	v_fma_f64 v[72:73], v[30:31], s[16:17], v[26:27]
	v_fma_f64 v[26:27], v[30:31], s[22:23], v[26:27]
	v_add_f64 v[8:9], v[8:9], v[82:83]
	v_add_f64 v[10:11], v[10:11], v[74:75]
	v_fma_f64 v[30:31], v[22:23], s[24:25], v[34:35]
	v_add_f64 v[34:35], v[36:37], v[38:39]
	v_add_f64 v[24:25], v[32:33], v[24:25]
	v_fma_f64 v[32:33], v[22:23], s[18:19], v[20:21]
	v_fma_f64 v[22:23], v[28:29], s[18:19], v[72:73]
	;; [unrolled: 1-line block ×3, first 2 shown]
	buffer_load_dword v28, off, s[40:43], 0 offset:1148 ; 4-byte Folded Reload
	v_add_f64 v[8:9], v[8:9], v[80:81]
	v_add_f64 v[10:11], v[10:11], v[78:79]
	v_fma_f64 v[20:21], v[24:25], s[20:21], v[30:31]
	v_fma_f64 v[24:25], v[24:25], s[20:21], v[32:33]
	;; [unrolled: 1-line block ×4, first 2 shown]
	v_add_f64 v[32:33], v[56:57], -v[60:61]
	v_add_f64 v[8:9], v[8:9], v[86:87]
	v_add_f64 v[10:11], v[10:11], v[84:85]
	s_waitcnt vmcnt(0)
	ds_write_b128 v28, v[8:11]
	ds_write_b128 v28, v[20:23] offset:160
	ds_write_b128 v28, v[12:15] offset:320
	;; [unrolled: 1-line block ×4, first 2 shown]
	v_add_f64 v[8:9], v[64:65], -v[58:59]
	v_add_f64 v[10:11], v[66:67], -v[70:71]
	;; [unrolled: 1-line block ×8, first 2 shown]
	v_add_f64 v[12:13], v[8:9], v[10:11]
	v_add_f64 v[8:9], v[60:61], -v[56:57]
	v_add_f64 v[10:11], v[62:63], -v[68:69]
	v_add_f64 v[14:15], v[8:9], v[10:11]
	v_add_f64 v[8:9], v[58:59], v[70:71]
	;; [unrolled: 1-line block ×3, first 2 shown]
	v_fma_f64 v[16:17], v[8:9], -0.5, v[4:5]
	v_fma_f64 v[22:23], v[10:11], -0.5, v[6:7]
	v_fma_f64 v[8:9], v[18:19], s[16:17], v[16:17]
	v_fma_f64 v[10:11], v[24:25], s[22:23], v[22:23]
	;; [unrolled: 1-line block ×12, first 2 shown]
	v_add_f64 v[16:17], v[64:65], v[66:67]
	v_add_f64 v[22:23], v[60:61], v[62:63]
	v_fma_f64 v[16:17], v[16:17], -0.5, v[4:5]
	v_fma_f64 v[22:23], v[22:23], -0.5, v[6:7]
	v_add_f64 v[4:5], v[4:5], v[58:59]
	v_add_f64 v[6:7], v[6:7], v[56:57]
	v_fma_f64 v[30:31], v[20:21], s[22:23], v[16:17]
	v_fma_f64 v[16:17], v[20:21], s[16:17], v[16:17]
	v_add_f64 v[20:21], v[70:71], -v[66:67]
	v_fma_f64 v[36:37], v[26:27], s[16:17], v[22:23]
	v_fma_f64 v[22:23], v[26:27], s[22:23], v[22:23]
	v_add_f64 v[4:5], v[4:5], v[64:65]
	v_add_f64 v[6:7], v[6:7], v[60:61]
	v_fma_f64 v[26:27], v[18:19], s[24:25], v[30:31]
	v_add_f64 v[30:31], v[32:33], v[34:35]
	v_add_f64 v[20:21], v[28:29], v[20:21]
	v_fma_f64 v[28:29], v[18:19], s[18:19], v[16:17]
	v_fma_f64 v[18:19], v[24:25], s[18:19], v[36:37]
	;; [unrolled: 1-line block ×3, first 2 shown]
	buffer_load_dword v24, off, s[40:43], 0 offset:848 ; 4-byte Folded Reload
	v_add_f64 v[4:5], v[4:5], v[66:67]
	v_add_f64 v[6:7], v[6:7], v[62:63]
	v_fma_f64 v[16:17], v[20:21], s[20:21], v[26:27]
	v_fma_f64 v[20:21], v[20:21], s[20:21], v[28:29]
	;; [unrolled: 1-line block ×4, first 2 shown]
	v_add_f64 v[28:29], v[40:41], -v[42:43]
	v_add_f64 v[4:5], v[4:5], v[70:71]
	v_add_f64 v[6:7], v[6:7], v[68:69]
	s_waitcnt vmcnt(0)
	ds_write_b128 v24, v[4:7]
	ds_write_b128 v24, v[16:19] offset:160
	ds_write_b128 v24, v[8:11] offset:320
	;; [unrolled: 1-line block ×4, first 2 shown]
	v_add_f64 v[4:5], v[50:51], -v[120:121]
	v_add_f64 v[6:7], v[48:49], -v[54:55]
	;; [unrolled: 1-line block ×8, first 2 shown]
	v_add_f64 v[8:9], v[4:5], v[6:7]
	v_add_f64 v[4:5], v[42:43], -v[40:41]
	v_add_f64 v[6:7], v[46:47], -v[52:53]
	v_add_f64 v[10:11], v[4:5], v[6:7]
	v_add_f64 v[4:5], v[120:121], v[54:55]
	;; [unrolled: 1-line block ×3, first 2 shown]
	v_fma_f64 v[12:13], v[4:5], -0.5, v[0:1]
	v_fma_f64 v[18:19], v[6:7], -0.5, v[2:3]
	v_fma_f64 v[4:5], v[14:15], s[16:17], v[12:13]
	v_fma_f64 v[6:7], v[20:21], s[22:23], v[18:19]
	v_fma_f64 v[12:13], v[14:15], s[22:23], v[12:13]
	v_fma_f64 v[18:19], v[20:21], s[16:17], v[18:19]
	v_fma_f64 v[4:5], v[16:17], s[24:25], v[4:5]
	v_fma_f64 v[6:7], v[22:23], s[18:19], v[6:7]
	v_fma_f64 v[12:13], v[16:17], s[18:19], v[12:13]
	v_fma_f64 v[18:19], v[22:23], s[24:25], v[18:19]
	v_fma_f64 v[4:5], v[8:9], s[20:21], v[4:5]
	v_fma_f64 v[6:7], v[10:11], s[20:21], v[6:7]
	v_fma_f64 v[8:9], v[8:9], s[20:21], v[12:13]
	v_fma_f64 v[10:11], v[10:11], s[20:21], v[18:19]
	v_add_f64 v[12:13], v[50:51], v[48:49]
	v_add_f64 v[18:19], v[42:43], v[46:47]
	v_fma_f64 v[12:13], v[12:13], -0.5, v[0:1]
	v_fma_f64 v[18:19], v[18:19], -0.5, v[2:3]
	v_add_f64 v[0:1], v[0:1], v[120:121]
	v_add_f64 v[2:3], v[2:3], v[40:41]
	v_fma_f64 v[26:27], v[16:17], s[22:23], v[12:13]
	v_fma_f64 v[12:13], v[16:17], s[16:17], v[12:13]
	v_add_f64 v[16:17], v[54:55], -v[48:49]
	v_fma_f64 v[32:33], v[22:23], s[16:17], v[18:19]
	v_fma_f64 v[18:19], v[22:23], s[22:23], v[18:19]
	v_add_f64 v[0:1], v[0:1], v[50:51]
	v_add_f64 v[2:3], v[2:3], v[42:43]
	v_fma_f64 v[22:23], v[14:15], s[24:25], v[26:27]
	v_add_f64 v[26:27], v[28:29], v[30:31]
	v_add_f64 v[16:17], v[24:25], v[16:17]
	v_fma_f64 v[24:25], v[14:15], s[18:19], v[12:13]
	v_fma_f64 v[14:15], v[20:21], s[18:19], v[32:33]
	;; [unrolled: 1-line block ×3, first 2 shown]
	buffer_load_dword v20, off, s[40:43], 0 offset:604 ; 4-byte Folded Reload
	v_add_f64 v[0:1], v[0:1], v[48:49]
	v_add_f64 v[2:3], v[2:3], v[46:47]
	v_fma_f64 v[12:13], v[16:17], s[20:21], v[22:23]
	v_fma_f64 v[16:17], v[16:17], s[20:21], v[24:25]
	;; [unrolled: 1-line block ×4, first 2 shown]
	v_add_f64 v[0:1], v[0:1], v[54:55]
	v_add_f64 v[2:3], v[2:3], v[52:53]
	s_waitcnt vmcnt(0)
	ds_write_b128 v20, v[0:3]
	ds_write_b128 v20, v[12:15] offset:160
	ds_write_b128 v20, v[4:7] offset:320
	;; [unrolled: 1-line block ×4, first 2 shown]
	s_waitcnt lgkmcnt(0)
	s_barrier
	ds_read_b128 v[0:3], v44 offset:21600
	buffer_load_dword v6, off, s[40:43], 0 offset:608 ; 4-byte Folded Reload
	buffer_load_dword v7, off, s[40:43], 0 offset:612 ; 4-byte Folded Reload
	buffer_load_dword v8, off, s[40:43], 0 offset:616 ; 4-byte Folded Reload
	buffer_load_dword v9, off, s[40:43], 0 offset:620 ; 4-byte Folded Reload
	s_waitcnt vmcnt(0) lgkmcnt(0)
	v_mul_f64 v[4:5], v[8:9], v[2:3]
	v_fma_f64 v[4:5], v[6:7], v[0:1], v[4:5]
	v_mul_f64 v[0:1], v[8:9], v[0:1]
	v_fma_f64 v[6:7], v[6:7], v[2:3], -v[0:1]
	ds_read_b128 v[0:3], v44 offset:43200
	buffer_load_dword v10, off, s[40:43], 0 offset:624 ; 4-byte Folded Reload
	buffer_load_dword v11, off, s[40:43], 0 offset:628 ; 4-byte Folded Reload
	buffer_load_dword v12, off, s[40:43], 0 offset:632 ; 4-byte Folded Reload
	buffer_load_dword v13, off, s[40:43], 0 offset:636 ; 4-byte Folded Reload
	s_waitcnt vmcnt(0) lgkmcnt(0)
	v_mul_f64 v[8:9], v[12:13], v[2:3]
	v_fma_f64 v[8:9], v[10:11], v[0:1], v[8:9]
	v_mul_f64 v[0:1], v[12:13], v[0:1]
	v_fma_f64 v[10:11], v[10:11], v[2:3], -v[0:1]
	;; [unrolled: 10-line block ×19, first 2 shown]
	ds_read_b128 v[0:3], v44 offset:62640
	buffer_load_dword v14, off, s[40:43], 0 offset:1344 ; 4-byte Folded Reload
	buffer_load_dword v15, off, s[40:43], 0 offset:1348 ; 4-byte Folded Reload
	;; [unrolled: 1-line block ×4, first 2 shown]
	s_waitcnt vmcnt(0) lgkmcnt(0)
	v_mul_f64 v[12:13], v[16:17], v[2:3]
	v_fma_f64 v[28:29], v[14:15], v[0:1], v[12:13]
	v_mul_f64 v[0:1], v[16:17], v[0:1]
	v_add_f64 v[12:13], v[4:5], v[8:9]
	v_fma_f64 v[30:31], v[14:15], v[2:3], -v[0:1]
	ds_read_b128 v[0:3], v44
	v_add_f64 v[14:15], v[6:7], v[10:11]
	s_waitcnt lgkmcnt(0)
	v_fma_f64 v[12:13], v[12:13], -0.5, v[0:1]
	v_add_f64 v[0:1], v[0:1], v[4:5]
	v_fma_f64 v[14:15], v[14:15], -0.5, v[2:3]
	v_add_f64 v[2:3], v[2:3], v[6:7]
	v_add_f64 v[6:7], v[6:7], -v[10:11]
	v_add_f64 v[98:99], v[0:1], v[8:9]
	v_add_f64 v[0:1], v[4:5], -v[8:9]
	v_add_f64 v[100:101], v[2:3], v[10:11]
	v_fma_f64 v[102:103], v[6:7], s[6:7], v[12:13]
	v_fma_f64 v[106:107], v[6:7], s[12:13], v[12:13]
	;; [unrolled: 1-line block ×4, first 2 shown]
	ds_read_b128 v[110:113], v44 offset:2160
	ds_read_b128 v[114:117], v44 offset:4320
	;; [unrolled: 1-line block ×9, first 2 shown]
	s_waitcnt lgkmcnt(0)
	s_barrier
	buffer_load_dword v45, off, s[40:43], 0 offset:1548 ; 4-byte Folded Reload
	s_waitcnt vmcnt(0)
	ds_write_b128 v45, v[98:101]
	ds_write_b128 v45, v[102:105] offset:800
	ds_write_b128 v45, v[106:109] offset:1600
	buffer_load_dword v45, off, s[40:43], 0 offset:1492 ; 4-byte Folded Reload
	v_add_f64 v[98:99], v[88:89], v[92:93]
	v_add_f64 v[106:107], v[110:111], v[88:89]
	v_fma_f64 v[102:103], v[98:99], -0.5, v[110:111]
	v_add_f64 v[98:99], v[90:91], v[94:95]
	v_fma_f64 v[104:105], v[98:99], -0.5, v[112:113]
	v_add_f64 v[98:99], v[112:113], v[90:91]
	v_add_f64 v[90:91], v[90:91], -v[94:95]
	v_add_f64 v[100:101], v[98:99], v[94:95]
	v_add_f64 v[94:95], v[88:89], -v[92:93]
	v_add_f64 v[98:99], v[106:107], v[92:93]
	v_fma_f64 v[88:89], v[90:91], s[6:7], v[102:103]
	v_fma_f64 v[92:93], v[90:91], s[12:13], v[102:103]
	;; [unrolled: 1-line block ×4, first 2 shown]
	s_waitcnt vmcnt(0)
	ds_write_b128 v45, v[98:101]
	ds_write_b128 v45, v[88:91] offset:800
	ds_write_b128 v45, v[92:95] offset:1600
	buffer_load_dword v45, off, s[40:43], 0 offset:1436 ; 4-byte Folded Reload
	v_add_f64 v[88:89], v[80:81], v[84:85]
	v_add_f64 v[94:95], v[114:115], v[80:81]
	v_fma_f64 v[90:91], v[88:89], -0.5, v[114:115]
	v_add_f64 v[88:89], v[82:83], v[86:87]
	v_fma_f64 v[92:93], v[88:89], -0.5, v[116:117]
	v_add_f64 v[88:89], v[116:117], v[82:83]
	v_add_f64 v[82:83], v[82:83], -v[86:87]
	v_add_f64 v[88:89], v[88:89], v[86:87]
	v_add_f64 v[86:87], v[94:95], v[84:85]
	v_add_f64 v[84:85], v[80:81], -v[84:85]
	v_fma_f64 v[80:81], v[82:83], s[6:7], v[90:91]
	v_fma_f64 v[90:91], v[82:83], s[12:13], v[90:91]
	;; [unrolled: 1-line block ×4, first 2 shown]
	s_waitcnt vmcnt(0)
	ds_write_b128 v45, v[86:89]
	ds_write_b128 v45, v[80:83] offset:800
	ds_write_b128 v45, v[90:93] offset:1600
	buffer_load_dword v45, off, s[40:43], 0 offset:1396 ; 4-byte Folded Reload
	v_add_f64 v[80:81], v[72:73], v[76:77]
	v_add_f64 v[86:87], v[118:119], v[72:73]
	v_fma_f64 v[82:83], v[80:81], -0.5, v[118:119]
	v_add_f64 v[80:81], v[74:75], v[78:79]
	v_fma_f64 v[84:85], v[80:81], -0.5, v[120:121]
	v_add_f64 v[80:81], v[120:121], v[74:75]
	v_add_f64 v[74:75], v[74:75], -v[78:79]
	v_add_f64 v[80:81], v[80:81], v[78:79]
	v_add_f64 v[78:79], v[86:87], v[76:77]
	v_add_f64 v[76:77], v[72:73], -v[76:77]
	v_fma_f64 v[72:73], v[74:75], s[6:7], v[82:83]
	v_fma_f64 v[82:83], v[74:75], s[12:13], v[82:83]
	;; [unrolled: 1-line block ×4, first 2 shown]
	s_waitcnt vmcnt(0)
	ds_write_b128 v45, v[78:81]
	ds_write_b128 v45, v[72:75] offset:800
	ds_write_b128 v45, v[82:85] offset:1600
	buffer_load_dword v45, off, s[40:43], 0 offset:1340 ; 4-byte Folded Reload
	v_add_f64 v[74:75], v[66:67], v[70:71]
	v_add_f64 v[72:73], v[64:65], v[68:69]
	v_fma_f64 v[74:75], v[74:75], -0.5, v[22:23]
	v_add_f64 v[22:23], v[22:23], v[66:67]
	v_fma_f64 v[72:73], v[72:73], -0.5, v[20:21]
	v_add_f64 v[20:21], v[20:21], v[64:65]
	v_add_f64 v[66:67], v[66:67], -v[70:71]
	v_add_f64 v[22:23], v[22:23], v[70:71]
	v_add_f64 v[70:71], v[64:65], -v[68:69]
	v_add_f64 v[20:21], v[20:21], v[68:69]
	v_fma_f64 v[64:65], v[66:67], s[6:7], v[72:73]
	v_fma_f64 v[68:69], v[66:67], s[12:13], v[72:73]
	;; [unrolled: 1-line block ×4, first 2 shown]
	s_waitcnt vmcnt(0)
	ds_write_b128 v45, v[20:23]
	ds_write_b128 v45, v[64:67] offset:800
	ds_write_b128 v45, v[68:71] offset:1600
	buffer_load_dword v45, off, s[40:43], 0 offset:1288 ; 4-byte Folded Reload
	v_add_f64 v[20:21], v[56:57], v[60:61]
	v_fma_f64 v[22:23], v[20:21], -0.5, v[16:17]
	v_add_f64 v[20:21], v[58:59], v[62:63]
	v_add_f64 v[16:17], v[16:17], v[56:57]
	v_fma_f64 v[64:65], v[20:21], -0.5, v[18:19]
	v_add_f64 v[18:19], v[18:19], v[58:59]
	v_add_f64 v[58:59], v[58:59], -v[62:63]
	v_add_f64 v[16:17], v[16:17], v[60:61]
	v_add_f64 v[60:61], v[56:57], -v[60:61]
	v_add_f64 v[18:19], v[18:19], v[62:63]
	v_fma_f64 v[20:21], v[58:59], s[6:7], v[22:23]
	v_fma_f64 v[56:57], v[58:59], s[12:13], v[22:23]
	;; [unrolled: 1-line block ×4, first 2 shown]
	s_waitcnt vmcnt(0)
	ds_write_b128 v45, v[16:19]
	ds_write_b128 v45, v[20:23] offset:800
	ds_write_b128 v45, v[56:59] offset:1600
	buffer_load_dword v45, off, s[40:43], 0 offset:1220 ; 4-byte Folded Reload
	v_add_f64 v[16:17], v[48:49], v[52:53]
	v_add_f64 v[20:21], v[50:51], -v[54:55]
	v_fma_f64 v[18:19], v[16:17], -0.5, v[12:13]
	v_add_f64 v[16:17], v[50:51], v[54:55]
	v_add_f64 v[12:13], v[12:13], v[48:49]
	v_add_f64 v[48:49], v[48:49], -v[52:53]
	v_fma_f64 v[22:23], v[16:17], -0.5, v[14:15]
	v_add_f64 v[14:15], v[14:15], v[50:51]
	v_add_f64 v[12:13], v[12:13], v[52:53]
	v_fma_f64 v[16:17], v[20:21], s[6:7], v[18:19]
	v_fma_f64 v[20:21], v[20:21], s[12:13], v[18:19]
	;; [unrolled: 1-line block ×3, first 2 shown]
	v_add_f64 v[14:15], v[14:15], v[54:55]
	v_fma_f64 v[22:23], v[48:49], s[6:7], v[22:23]
	s_waitcnt vmcnt(0)
	ds_write_b128 v45, v[12:15]
	ds_write_b128 v45, v[16:19] offset:800
	ds_write_b128 v45, v[20:23] offset:1600
	v_add_f64 v[12:13], v[40:41], v[96:97]
	v_add_f64 v[16:17], v[42:43], -v[46:47]
	v_add_f64 v[20:21], v[40:41], -v[96:97]
	v_fma_f64 v[14:15], v[12:13], -0.5, v[8:9]
	v_add_f64 v[12:13], v[42:43], v[46:47]
	v_add_f64 v[8:9], v[8:9], v[40:41]
	v_fma_f64 v[18:19], v[12:13], -0.5, v[10:11]
	v_fma_f64 v[12:13], v[16:17], s[6:7], v[14:15]
	v_fma_f64 v[16:17], v[16:17], s[12:13], v[14:15]
	v_add_f64 v[10:11], v[10:11], v[42:43]
	v_add_f64 v[8:9], v[8:9], v[96:97]
	v_fma_f64 v[14:15], v[20:21], s[12:13], v[18:19]
	v_fma_f64 v[18:19], v[20:21], s[6:7], v[18:19]
	buffer_load_dword v20, off, s[40:43], 0 offset:1152 ; 4-byte Folded Reload
	v_add_f64 v[10:11], v[10:11], v[46:47]
	s_waitcnt vmcnt(0)
	ds_write_b128 v20, v[8:11]
	ds_write_b128 v20, v[12:15] offset:800
	ds_write_b128 v20, v[16:19] offset:1600
	v_add_f64 v[8:9], v[32:33], v[36:37]
	v_add_f64 v[12:13], v[34:35], -v[38:39]
	v_add_f64 v[16:17], v[32:33], -v[36:37]
	v_fma_f64 v[10:11], v[8:9], -0.5, v[4:5]
	v_add_f64 v[8:9], v[34:35], v[38:39]
	v_add_f64 v[4:5], v[4:5], v[32:33]
	v_fma_f64 v[14:15], v[8:9], -0.5, v[6:7]
	v_fma_f64 v[8:9], v[12:13], s[6:7], v[10:11]
	v_fma_f64 v[12:13], v[12:13], s[12:13], v[10:11]
	v_add_f64 v[6:7], v[6:7], v[34:35]
	v_add_f64 v[4:5], v[4:5], v[36:37]
	v_fma_f64 v[10:11], v[16:17], s[12:13], v[14:15]
	v_fma_f64 v[14:15], v[16:17], s[6:7], v[14:15]
	buffer_load_dword v16, off, s[40:43], 0 offset:1064 ; 4-byte Folded Reload
	v_add_f64 v[6:7], v[6:7], v[38:39]
	;; [unrolled: 19-line block ×3, first 2 shown]
	s_waitcnt vmcnt(0)
	ds_write_b128 v12, v[0:3]
	ds_write_b128 v12, v[4:7] offset:800
	ds_write_b128 v12, v[8:11] offset:1600
	s_waitcnt lgkmcnt(0)
	s_barrier
	ds_read_b128 v[0:3], v44 offset:21600
	buffer_load_dword v6, off, s[40:43], 0 offset:1016 ; 4-byte Folded Reload
	buffer_load_dword v7, off, s[40:43], 0 offset:1020 ; 4-byte Folded Reload
	buffer_load_dword v8, off, s[40:43], 0 offset:1024 ; 4-byte Folded Reload
	buffer_load_dword v9, off, s[40:43], 0 offset:1028 ; 4-byte Folded Reload
	s_waitcnt vmcnt(0) lgkmcnt(0)
	v_mul_f64 v[4:5], v[8:9], v[2:3]
	v_fma_f64 v[4:5], v[6:7], v[0:1], v[4:5]
	v_mul_f64 v[0:1], v[8:9], v[0:1]
	v_fma_f64 v[6:7], v[6:7], v[2:3], -v[0:1]
	ds_read_b128 v[0:3], v44 offset:43200
	buffer_load_dword v10, off, s[40:43], 0 offset:1032 ; 4-byte Folded Reload
	buffer_load_dword v11, off, s[40:43], 0 offset:1036 ; 4-byte Folded Reload
	buffer_load_dword v12, off, s[40:43], 0 offset:1040 ; 4-byte Folded Reload
	buffer_load_dword v13, off, s[40:43], 0 offset:1044 ; 4-byte Folded Reload
	s_waitcnt vmcnt(0) lgkmcnt(0)
	v_mul_f64 v[8:9], v[12:13], v[2:3]
	v_fma_f64 v[8:9], v[10:11], v[0:1], v[8:9]
	v_mul_f64 v[0:1], v[12:13], v[0:1]
	v_fma_f64 v[10:11], v[10:11], v[2:3], -v[0:1]
	;; [unrolled: 10-line block ×20, first 2 shown]
	v_add_f64 v[82:83], v[4:5], v[8:9]
	ds_read_b128 v[0:3], v44
	s_waitcnt lgkmcnt(0)
	v_fma_f64 v[88:89], v[82:83], -0.5, v[0:1]
	v_add_f64 v[82:83], v[6:7], v[10:11]
	v_add_f64 v[0:1], v[0:1], v[4:5]
	v_fma_f64 v[92:93], v[82:83], -0.5, v[2:3]
	v_add_f64 v[2:3], v[2:3], v[6:7]
	v_add_f64 v[6:7], v[6:7], -v[10:11]
	v_add_f64 v[82:83], v[0:1], v[8:9]
	v_add_f64 v[0:1], v[4:5], -v[8:9]
	;; [unrolled: 2-line block ×3, first 2 shown]
	v_add_f64 v[84:85], v[2:3], v[10:11]
	v_fma_f64 v[86:87], v[6:7], s[6:7], v[88:89]
	v_fma_f64 v[90:91], v[6:7], s[12:13], v[88:89]
	v_add_f64 v[6:7], v[14:15], v[94:95]
	v_fma_f64 v[88:89], v[0:1], s[12:13], v[92:93]
	v_fma_f64 v[92:93], v[0:1], s[6:7], v[92:93]
	ds_read_b128 v[0:3], v44 offset:2160
	s_waitcnt lgkmcnt(0)
	v_fma_f64 v[4:5], v[4:5], -0.5, v[0:1]
	v_fma_f64 v[6:7], v[6:7], -0.5, v[2:3]
	v_add_f64 v[2:3], v[2:3], v[14:15]
	v_add_f64 v[0:1], v[0:1], v[12:13]
	v_fma_f64 v[102:103], v[8:9], s[12:13], v[4:5]
	v_add_f64 v[96:97], v[2:3], v[94:95]
	v_add_f64 v[94:95], v[0:1], v[98:99]
	v_add_f64 v[0:1], v[12:13], -v[98:99]
	v_fma_f64 v[98:99], v[8:9], s[6:7], v[4:5]
	v_fma_f64 v[100:101], v[0:1], s[12:13], v[6:7]
	;; [unrolled: 1-line block ×3, first 2 shown]
	ds_read_b128 v[106:109], v44 offset:4320
	ds_read_b128 v[110:113], v44 offset:6480
	;; [unrolled: 1-line block ×8, first 2 shown]
	s_waitcnt lgkmcnt(0)
	s_barrier
	ds_write_b128 v44, v[82:85]
	ds_write_b128 v44, v[86:89] offset:2400
	ds_write_b128 v44, v[90:93] offset:4800
	buffer_load_dword v45, off, s[40:43], 0 offset:1784 ; 4-byte Folded Reload
	s_waitcnt vmcnt(0)
	ds_write_b128 v45, v[94:97]
	ds_write_b128 v45, v[98:101] offset:2400
	ds_write_b128 v45, v[102:105] offset:4800
	buffer_load_dword v45, off, s[40:43], 0 offset:1764 ; 4-byte Folded Reload
	v_add_f64 v[82:83], v[72:73], v[76:77]
	v_add_f64 v[90:91], v[106:107], v[72:73]
	v_fma_f64 v[86:87], v[82:83], -0.5, v[106:107]
	v_add_f64 v[82:83], v[74:75], v[78:79]
	v_fma_f64 v[88:89], v[82:83], -0.5, v[108:109]
	v_add_f64 v[82:83], v[108:109], v[74:75]
	v_add_f64 v[74:75], v[74:75], -v[78:79]
	v_add_f64 v[84:85], v[82:83], v[78:79]
	v_add_f64 v[78:79], v[72:73], -v[76:77]
	v_add_f64 v[82:83], v[90:91], v[76:77]
	v_fma_f64 v[72:73], v[74:75], s[6:7], v[86:87]
	v_fma_f64 v[76:77], v[74:75], s[12:13], v[86:87]
	v_fma_f64 v[74:75], v[78:79], s[12:13], v[88:89]
	v_fma_f64 v[78:79], v[78:79], s[6:7], v[88:89]
	s_waitcnt vmcnt(0)
	ds_write_b128 v45, v[82:85]
	ds_write_b128 v45, v[72:75] offset:2400
	ds_write_b128 v45, v[76:79] offset:4800
	buffer_load_dword v45, off, s[40:43], 0 offset:1728 ; 4-byte Folded Reload
	v_add_f64 v[72:73], v[64:65], v[68:69]
	v_add_f64 v[78:79], v[110:111], v[64:65]
	v_fma_f64 v[74:75], v[72:73], -0.5, v[110:111]
	v_add_f64 v[72:73], v[66:67], v[70:71]
	v_fma_f64 v[76:77], v[72:73], -0.5, v[112:113]
	v_add_f64 v[72:73], v[112:113], v[66:67]
	v_add_f64 v[66:67], v[66:67], -v[70:71]
	v_add_f64 v[72:73], v[72:73], v[70:71]
	v_add_f64 v[70:71], v[78:79], v[68:69]
	v_add_f64 v[68:69], v[64:65], -v[68:69]
	v_fma_f64 v[64:65], v[66:67], s[6:7], v[74:75]
	v_fma_f64 v[74:75], v[66:67], s[12:13], v[74:75]
	v_fma_f64 v[66:67], v[68:69], s[12:13], v[76:77]
	v_fma_f64 v[76:77], v[68:69], s[6:7], v[76:77]
	s_waitcnt vmcnt(0)
	ds_write_b128 v45, v[70:73]
	ds_write_b128 v45, v[64:67] offset:2400
	ds_write_b128 v45, v[74:77] offset:4800
	buffer_load_dword v45, off, s[40:43], 0 offset:1660 ; 4-byte Folded Reload
	v_add_f64 v[64:65], v[56:57], v[60:61]
	v_add_f64 v[70:71], v[114:115], v[56:57]
	v_fma_f64 v[66:67], v[64:65], -0.5, v[114:115]
	v_add_f64 v[64:65], v[58:59], v[62:63]
	v_fma_f64 v[68:69], v[64:65], -0.5, v[116:117]
	v_add_f64 v[64:65], v[116:117], v[58:59]
	v_add_f64 v[58:59], v[58:59], -v[62:63]
	v_add_f64 v[64:65], v[64:65], v[62:63]
	v_add_f64 v[62:63], v[70:71], v[60:61]
	v_add_f64 v[60:61], v[56:57], -v[60:61]
	;; [unrolled: 19-line block ×3, first 2 shown]
	v_fma_f64 v[48:49], v[50:51], s[6:7], v[58:59]
	v_fma_f64 v[58:59], v[50:51], s[12:13], v[58:59]
	;; [unrolled: 1-line block ×4, first 2 shown]
	s_waitcnt vmcnt(0)
	ds_write_b128 v45, v[54:57]
	ds_write_b128 v45, v[48:51] offset:2400
	ds_write_b128 v45, v[58:61] offset:4800
	v_add_f64 v[48:49], v[40:41], v[80:81]
	v_add_f64 v[50:51], v[42:43], v[46:47]
	v_add_f64 v[52:53], v[40:41], -v[80:81]
	v_fma_f64 v[48:49], v[48:49], -0.5, v[12:13]
	v_fma_f64 v[50:51], v[50:51], -0.5, v[14:15]
	v_add_f64 v[14:15], v[14:15], v[42:43]
	v_add_f64 v[42:43], v[42:43], -v[46:47]
	v_add_f64 v[12:13], v[12:13], v[40:41]
	v_add_f64 v[14:15], v[14:15], v[46:47]
	v_fma_f64 v[40:41], v[42:43], s[6:7], v[48:49]
	v_fma_f64 v[45:46], v[42:43], s[12:13], v[48:49]
	buffer_load_dword v49, off, s[40:43], 0 offset:1584 ; 4-byte Folded Reload
	v_add_f64 v[12:13], v[12:13], v[80:81]
	v_fma_f64 v[42:43], v[52:53], s[12:13], v[50:51]
	v_fma_f64 v[47:48], v[52:53], s[6:7], v[50:51]
	s_waitcnt vmcnt(0)
	ds_write_b128 v49, v[12:15]
	ds_write_b128 v49, v[40:43] offset:2400
	ds_write_b128 v49, v[45:48] offset:4800
	v_add_f64 v[12:13], v[32:33], v[36:37]
	v_fma_f64 v[14:15], v[12:13], -0.5, v[8:9]
	v_add_f64 v[12:13], v[34:35], v[38:39]
	v_add_f64 v[8:9], v[8:9], v[32:33]
	v_fma_f64 v[40:41], v[12:13], -0.5, v[10:11]
	v_add_f64 v[10:11], v[10:11], v[34:35]
	v_add_f64 v[34:35], v[34:35], -v[38:39]
	v_add_f64 v[8:9], v[8:9], v[36:37]
	v_add_f64 v[36:37], v[32:33], -v[36:37]
	v_add_f64 v[10:11], v[10:11], v[38:39]
	v_fma_f64 v[12:13], v[34:35], s[6:7], v[14:15]
	v_fma_f64 v[32:33], v[34:35], s[12:13], v[14:15]
	;; [unrolled: 1-line block ×4, first 2 shown]
	buffer_load_dword v36, off, s[40:43], 0 offset:1512 ; 4-byte Folded Reload
	s_waitcnt vmcnt(0)
	ds_write_b128 v36, v[8:11]
	ds_write_b128 v36, v[12:15] offset:2400
	ds_write_b128 v36, v[32:35] offset:4800
	v_add_f64 v[8:9], v[24:25], v[28:29]
	v_add_f64 v[12:13], v[26:27], -v[30:31]
	v_fma_f64 v[10:11], v[8:9], -0.5, v[4:5]
	v_add_f64 v[8:9], v[26:27], v[30:31]
	v_add_f64 v[4:5], v[4:5], v[24:25]
	v_add_f64 v[24:25], v[24:25], -v[28:29]
	v_fma_f64 v[14:15], v[8:9], -0.5, v[6:7]
	v_fma_f64 v[8:9], v[12:13], s[6:7], v[10:11]
	v_fma_f64 v[12:13], v[12:13], s[12:13], v[10:11]
	v_add_f64 v[6:7], v[6:7], v[26:27]
	v_add_f64 v[4:5], v[4:5], v[28:29]
	v_fma_f64 v[10:11], v[24:25], s[12:13], v[14:15]
	v_fma_f64 v[14:15], v[24:25], s[6:7], v[14:15]
	buffer_load_dword v24, off, s[40:43], 0 offset:1440 ; 4-byte Folded Reload
	v_add_f64 v[6:7], v[6:7], v[30:31]
	s_waitcnt vmcnt(0)
	ds_write_b128 v24, v[4:7]
	ds_write_b128 v24, v[8:11] offset:2400
	ds_write_b128 v24, v[12:15] offset:4800
	v_add_f64 v[4:5], v[16:17], v[20:21]
	v_add_f64 v[8:9], v[18:19], -v[22:23]
	v_add_f64 v[12:13], v[16:17], -v[20:21]
	v_fma_f64 v[6:7], v[4:5], -0.5, v[0:1]
	v_add_f64 v[4:5], v[18:19], v[22:23]
	v_add_f64 v[0:1], v[0:1], v[16:17]
	v_fma_f64 v[10:11], v[4:5], -0.5, v[2:3]
	v_fma_f64 v[4:5], v[8:9], s[6:7], v[6:7]
	v_fma_f64 v[8:9], v[8:9], s[12:13], v[6:7]
	v_add_f64 v[2:3], v[2:3], v[18:19]
	v_add_f64 v[0:1], v[0:1], v[20:21]
	v_fma_f64 v[6:7], v[12:13], s[12:13], v[10:11]
	v_fma_f64 v[10:11], v[12:13], s[6:7], v[10:11]
	buffer_load_dword v12, off, s[40:43], 0 offset:1400 ; 4-byte Folded Reload
	v_add_f64 v[2:3], v[2:3], v[22:23]
	s_waitcnt vmcnt(0)
	ds_write_b128 v12, v[0:3] offset:57600
	ds_write_b128 v12, v[4:7] offset:60000
	;; [unrolled: 1-line block ×3, first 2 shown]
	s_waitcnt lgkmcnt(0)
	s_barrier
	ds_read_b128 v[0:3], v44 offset:21600
	buffer_load_dword v6, off, s[40:43], 0 offset:1444 ; 4-byte Folded Reload
	buffer_load_dword v7, off, s[40:43], 0 offset:1448 ; 4-byte Folded Reload
	;; [unrolled: 1-line block ×4, first 2 shown]
	s_waitcnt vmcnt(0) lgkmcnt(0)
	v_mul_f64 v[4:5], v[8:9], v[2:3]
	v_fma_f64 v[58:59], v[6:7], v[0:1], v[4:5]
	v_mul_f64 v[0:1], v[8:9], v[0:1]
	v_fma_f64 v[54:55], v[6:7], v[2:3], -v[0:1]
	ds_read_b128 v[0:3], v44 offset:43200
	buffer_load_dword v6, off, s[40:43], 0 offset:1460 ; 4-byte Folded Reload
	buffer_load_dword v7, off, s[40:43], 0 offset:1464 ; 4-byte Folded Reload
	;; [unrolled: 1-line block ×4, first 2 shown]
	s_waitcnt vmcnt(0) lgkmcnt(0)
	v_mul_f64 v[4:5], v[8:9], v[2:3]
	v_fma_f64 v[60:61], v[6:7], v[0:1], v[4:5]
	v_mul_f64 v[0:1], v[8:9], v[0:1]
	v_add_f64 v[62:63], v[58:59], v[60:61]
	v_fma_f64 v[56:57], v[6:7], v[2:3], -v[0:1]
	ds_read_b128 v[0:3], v44 offset:23760
	buffer_load_dword v6, off, s[40:43], 0 offset:1516 ; 4-byte Folded Reload
	buffer_load_dword v7, off, s[40:43], 0 offset:1520 ; 4-byte Folded Reload
	buffer_load_dword v8, off, s[40:43], 0 offset:1524 ; 4-byte Folded Reload
	buffer_load_dword v9, off, s[40:43], 0 offset:1528 ; 4-byte Folded Reload
	v_add_f64 v[64:65], v[54:55], v[56:57]
	v_add_f64 v[74:75], v[54:55], -v[56:57]
	s_waitcnt vmcnt(0) lgkmcnt(0)
	v_mul_f64 v[4:5], v[8:9], v[2:3]
	v_fma_f64 v[70:71], v[6:7], v[0:1], v[4:5]
	v_mul_f64 v[0:1], v[8:9], v[0:1]
	v_fma_f64 v[66:67], v[6:7], v[2:3], -v[0:1]
	ds_read_b128 v[0:3], v44 offset:45360
	buffer_load_dword v6, off, s[40:43], 0 offset:1532 ; 4-byte Folded Reload
	buffer_load_dword v7, off, s[40:43], 0 offset:1536 ; 4-byte Folded Reload
	buffer_load_dword v8, off, s[40:43], 0 offset:1540 ; 4-byte Folded Reload
	buffer_load_dword v9, off, s[40:43], 0 offset:1544 ; 4-byte Folded Reload
	s_waitcnt vmcnt(0) lgkmcnt(0)
	v_mul_f64 v[4:5], v[8:9], v[2:3]
	v_fma_f64 v[72:73], v[6:7], v[0:1], v[4:5]
	v_mul_f64 v[0:1], v[8:9], v[0:1]
	v_fma_f64 v[68:69], v[6:7], v[2:3], -v[0:1]
	ds_read_b128 v[0:3], v44 offset:25920
	buffer_load_dword v6, off, s[40:43], 0 offset:1592 ; 4-byte Folded Reload
	buffer_load_dword v7, off, s[40:43], 0 offset:1596 ; 4-byte Folded Reload
	buffer_load_dword v8, off, s[40:43], 0 offset:1600 ; 4-byte Folded Reload
	buffer_load_dword v9, off, s[40:43], 0 offset:1604 ; 4-byte Folded Reload
	v_add_f64 v[76:77], v[66:67], v[68:69]
	v_add_f64 v[86:87], v[66:67], -v[68:69]
	s_waitcnt vmcnt(0) lgkmcnt(0)
	v_mul_f64 v[4:5], v[8:9], v[2:3]
	v_fma_f64 v[82:83], v[6:7], v[0:1], v[4:5]
	v_mul_f64 v[0:1], v[8:9], v[0:1]
	v_fma_f64 v[78:79], v[6:7], v[2:3], -v[0:1]
	ds_read_b128 v[0:3], v44 offset:47520
	buffer_load_dword v6, off, s[40:43], 0 offset:1608 ; 4-byte Folded Reload
	buffer_load_dword v7, off, s[40:43], 0 offset:1612 ; 4-byte Folded Reload
	buffer_load_dword v8, off, s[40:43], 0 offset:1616 ; 4-byte Folded Reload
	buffer_load_dword v9, off, s[40:43], 0 offset:1620 ; 4-byte Folded Reload
	s_waitcnt vmcnt(0) lgkmcnt(0)
	v_mul_f64 v[4:5], v[8:9], v[2:3]
	v_fma_f64 v[84:85], v[6:7], v[0:1], v[4:5]
	v_mul_f64 v[0:1], v[8:9], v[0:1]
	;; [unrolled: 22-line block ×4, first 2 shown]
	v_fma_f64 v[50:51], v[6:7], v[2:3], -v[0:1]
	ds_read_b128 v[0:3], v44 offset:32400
	buffer_load_dword v6, off, s[40:43], 0 offset:1768 ; 4-byte Folded Reload
	buffer_load_dword v7, off, s[40:43], 0 offset:1772 ; 4-byte Folded Reload
	;; [unrolled: 1-line block ×4, first 2 shown]
	s_waitcnt vmcnt(0) lgkmcnt(0)
	v_mul_f64 v[4:5], v[8:9], v[2:3]
	v_fma_f64 v[30:31], v[6:7], v[0:1], v[4:5]
	v_mul_f64 v[0:1], v[8:9], v[0:1]
	v_fma_f64 v[36:37], v[6:7], v[2:3], -v[0:1]
	ds_read_b128 v[0:3], v44 offset:54000
	s_waitcnt lgkmcnt(0)
	v_mul_f64 v[4:5], v[254:255], v[2:3]
	v_fma_f64 v[38:39], v[252:253], v[0:1], v[4:5]
	v_mul_f64 v[0:1], v[254:255], v[0:1]
	v_fma_f64 v[46:47], v[252:253], v[2:3], -v[0:1]
	ds_read_b128 v[0:3], v44 offset:34560
	s_waitcnt lgkmcnt(0)
	;; [unrolled: 6-line block ×9, first 2 shown]
	v_mul_f64 v[12:13], v[175:176], v[2:3]
	v_fma_f64 v[12:13], v[173:174], v[0:1], v[12:13]
	v_mul_f64 v[0:1], v[175:176], v[0:1]
	v_fma_f64 v[22:23], v[173:174], v[2:3], -v[0:1]
	ds_read_b128 v[0:3], v44
	s_waitcnt lgkmcnt(0)
	v_fma_f64 v[62:63], v[62:63], -0.5, v[0:1]
	v_add_f64 v[0:1], v[0:1], v[58:59]
	v_fma_f64 v[64:65], v[64:65], -0.5, v[2:3]
	v_add_f64 v[2:3], v[2:3], v[54:55]
	v_add_f64 v[54:55], v[0:1], v[60:61]
	v_add_f64 v[0:1], v[58:59], -v[60:61]
	v_fma_f64 v[58:59], v[74:75], s[6:7], v[62:63]
	v_fma_f64 v[62:63], v[74:75], s[12:13], v[62:63]
	v_add_f64 v[74:75], v[70:71], v[72:73]
	v_add_f64 v[56:57], v[2:3], v[56:57]
	v_fma_f64 v[60:61], v[0:1], s[12:13], v[64:65]
	v_fma_f64 v[64:65], v[0:1], s[6:7], v[64:65]
	ds_read_b128 v[0:3], v44 offset:2160
	s_waitcnt lgkmcnt(0)
	v_fma_f64 v[74:75], v[74:75], -0.5, v[0:1]
	v_add_f64 v[0:1], v[0:1], v[70:71]
	v_fma_f64 v[76:77], v[76:77], -0.5, v[2:3]
	v_add_f64 v[2:3], v[2:3], v[66:67]
	v_add_f64 v[66:67], v[0:1], v[72:73]
	v_add_f64 v[0:1], v[70:71], -v[72:73]
	v_fma_f64 v[70:71], v[86:87], s[6:7], v[74:75]
	v_fma_f64 v[74:75], v[86:87], s[12:13], v[74:75]
	v_add_f64 v[86:87], v[82:83], v[84:85]
	v_add_f64 v[68:69], v[2:3], v[68:69]
	v_fma_f64 v[72:73], v[0:1], s[12:13], v[76:77]
	v_fma_f64 v[76:77], v[0:1], s[6:7], v[76:77]
	ds_read_b128 v[0:3], v44 offset:4320
	;; [unrolled: 14-line block ×3, first 2 shown]
	s_waitcnt lgkmcnt(0)
	v_fma_f64 v[98:99], v[98:99], -0.5, v[0:1]
	v_add_f64 v[0:1], v[0:1], v[94:95]
	v_fma_f64 v[100:101], v[100:101], -0.5, v[2:3]
	v_add_f64 v[2:3], v[2:3], v[90:91]
	v_add_f64 v[90:91], v[0:1], v[96:97]
	v_add_f64 v[0:1], v[94:95], -v[96:97]
	v_add_f64 v[92:93], v[2:3], v[92:93]
	v_fma_f64 v[94:95], v[102:103], s[6:7], v[98:99]
	v_fma_f64 v[98:99], v[102:103], s[12:13], v[98:99]
	v_fma_f64 v[96:97], v[0:1], s[12:13], v[100:101]
	v_fma_f64 v[100:101], v[0:1], s[6:7], v[100:101]
	ds_read_b128 v[102:105], v44 offset:8640
	ds_read_b128 v[106:109], v44 offset:10800
	;; [unrolled: 1-line block ×6, first 2 shown]
	s_waitcnt lgkmcnt(0)
	s_barrier
	ds_write_b128 v44, v[54:57]
	ds_write_b128 v44, v[58:61] offset:7200
	ds_write_b128 v44, v[62:65] offset:14400
	;; [unrolled: 1-line block ×8, first 2 shown]
	buffer_load_dword v45, off, s[40:43], 0 offset:1804 ; 4-byte Folded Reload
	v_add_f64 v[54:55], v[32:33], v[52:53]
	v_add_f64 v[62:63], v[102:103], v[32:33]
	v_add_f64 v[32:33], v[32:33], -v[52:53]
	v_add_f64 v[66:67], v[106:107], v[30:31]
	s_waitcnt vmcnt(0)
	ds_write_b128 v45, v[90:93]
	ds_write_b128 v45, v[94:97] offset:7200
	ds_write_b128 v45, v[98:101] offset:14400
	v_fma_f64 v[58:59], v[54:55], -0.5, v[102:103]
	v_add_f64 v[54:55], v[42:43], v[50:51]
	v_fma_f64 v[60:61], v[54:55], -0.5, v[104:105]
	v_add_f64 v[54:55], v[104:105], v[42:43]
	v_add_f64 v[42:43], v[42:43], -v[50:51]
	v_add_f64 v[56:57], v[54:55], v[50:51]
	v_add_f64 v[54:55], v[62:63], v[52:53]
	v_fma_f64 v[50:51], v[42:43], s[6:7], v[58:59]
	v_fma_f64 v[58:59], v[42:43], s[12:13], v[58:59]
	v_fma_f64 v[52:53], v[32:33], s[12:13], v[60:61]
	v_fma_f64 v[60:61], v[32:33], s[6:7], v[60:61]
	v_add_f64 v[32:33], v[30:31], v[38:39]
	v_add_f64 v[42:43], v[36:37], v[46:47]
	;; [unrolled: 1-line block ×3, first 2 shown]
	v_add_f64 v[36:37], v[36:37], -v[46:47]
	v_fma_f64 v[32:33], v[32:33], -0.5, v[106:107]
	v_fma_f64 v[42:43], v[42:43], -0.5, v[108:109]
	v_add_f64 v[64:65], v[62:63], v[46:47]
	v_add_f64 v[62:63], v[66:67], v[38:39]
	v_add_f64 v[38:39], v[30:31], -v[38:39]
	v_add_f64 v[45:46], v[34:35], v[48:49]
	v_add_f64 v[66:67], v[110:111], v[28:29]
	v_fma_f64 v[30:31], v[36:37], s[6:7], v[32:33]
	v_fma_f64 v[36:37], v[36:37], s[12:13], v[32:33]
	v_fma_f64 v[32:33], v[38:39], s[12:13], v[42:43]
	v_fma_f64 v[38:39], v[38:39], s[6:7], v[42:43]
	v_add_f64 v[42:43], v[28:29], v[40:41]
	v_fma_f64 v[68:69], v[45:46], -0.5, v[112:113]
	v_add_f64 v[45:46], v[112:113], v[34:35]
	v_add_f64 v[34:35], v[34:35], -v[48:49]
	v_add_f64 v[28:29], v[28:29], -v[40:41]
	ds_write_b128 v44, v[54:57] offset:23040
	ds_write_b128 v44, v[50:53] offset:30240
	;; [unrolled: 1-line block ×6, first 2 shown]
	v_add_f64 v[36:37], v[114:115], v[8:9]
	v_add_f64 v[38:39], v[16:17], -v[24:25]
	v_fma_f64 v[42:43], v[42:43], -0.5, v[110:111]
	v_add_f64 v[47:48], v[45:46], v[48:49]
	v_add_f64 v[45:46], v[66:67], v[40:41]
	v_fma_f64 v[40:41], v[34:35], s[6:7], v[42:43]
	v_fma_f64 v[66:67], v[34:35], s[12:13], v[42:43]
	;; [unrolled: 1-line block ×4, first 2 shown]
	buffer_load_dword v28, off, s[40:43], 0 offset:1800 ; 4-byte Folded Reload
	s_waitcnt vmcnt(0)
	ds_write_b128 v28, v[45:48]
	ds_write_b128 v28, v[40:43] offset:7200
	ds_write_b128 v28, v[66:69] offset:14400
	v_add_f64 v[28:29], v[8:9], v[18:19]
	v_add_f64 v[8:9], v[8:9], -v[18:19]
	v_fma_f64 v[32:33], v[28:29], -0.5, v[114:115]
	v_add_f64 v[28:29], v[16:17], v[24:25]
	v_fma_f64 v[34:35], v[28:29], -0.5, v[116:117]
	v_add_f64 v[28:29], v[116:117], v[16:17]
	v_fma_f64 v[16:17], v[38:39], s[6:7], v[32:33]
	v_fma_f64 v[32:33], v[38:39], s[12:13], v[32:33]
	v_add_f64 v[30:31], v[28:29], v[24:25]
	v_add_f64 v[24:25], v[14:15], v[26:27]
	;; [unrolled: 1-line block ×3, first 2 shown]
	v_fma_f64 v[18:19], v[8:9], s[12:13], v[34:35]
	v_fma_f64 v[34:35], v[8:9], s[6:7], v[34:35]
	v_add_f64 v[8:9], v[6:7], v[20:21]
	v_add_f64 v[36:37], v[118:119], v[6:7]
	v_fma_f64 v[38:39], v[24:25], -0.5, v[120:121]
	v_add_f64 v[24:25], v[120:121], v[14:15]
	v_add_f64 v[14:15], v[14:15], -v[26:27]
	v_fma_f64 v[8:9], v[8:9], -0.5, v[118:119]
	v_add_f64 v[26:27], v[24:25], v[26:27]
	v_add_f64 v[24:25], v[36:37], v[20:21]
	v_add_f64 v[20:21], v[6:7], -v[20:21]
	v_fma_f64 v[6:7], v[14:15], s[6:7], v[8:9]
	v_fma_f64 v[36:37], v[14:15], s[12:13], v[8:9]
	v_add_f64 v[14:15], v[4:5], v[12:13]
	v_fma_f64 v[8:9], v[20:21], s[12:13], v[38:39]
	v_fma_f64 v[38:39], v[20:21], s[6:7], v[38:39]
	v_add_f64 v[20:21], v[10:11], v[22:23]
	v_fma_f64 v[14:15], v[14:15], -0.5, v[0:1]
	v_add_f64 v[0:1], v[0:1], v[4:5]
	v_add_f64 v[4:5], v[4:5], -v[12:13]
	v_fma_f64 v[40:41], v[20:21], -0.5, v[2:3]
	v_add_f64 v[2:3], v[2:3], v[10:11]
	v_add_f64 v[20:21], v[10:11], -v[22:23]
	v_add_f64 v[0:1], v[0:1], v[12:13]
	v_fma_f64 v[12:13], v[4:5], s[12:13], v[40:41]
	v_add_f64 v[2:3], v[2:3], v[22:23]
	v_fma_f64 v[22:23], v[4:5], s[6:7], v[40:41]
	buffer_load_dword v4, off, s[40:43], 0 offset:1788 ; 4-byte Folded Reload
	s_waitcnt vmcnt(0)
	ds_write_b128 v4, v[28:31] offset:43200
	ds_write_b128 v4, v[16:19] offset:50400
	ds_write_b128 v4, v[32:35] offset:57600
	buffer_load_dword v4, off, s[40:43], 0 offset:1792 ; 4-byte Folded Reload
	s_waitcnt vmcnt(0)
	ds_write_b128 v4, v[24:27] offset:43200
	ds_write_b128 v4, v[6:9] offset:50400
	;; [unrolled: 1-line block ×3, first 2 shown]
	buffer_load_dword v4, off, s[40:43], 0 offset:1796 ; 4-byte Folded Reload
	v_fma_f64 v[10:11], v[20:21], s[6:7], v[14:15]
	v_fma_f64 v[20:21], v[20:21], s[12:13], v[14:15]
	s_waitcnt vmcnt(0)
	ds_write_b128 v4, v[0:3] offset:43200
	ds_write_b128 v4, v[10:13] offset:50400
	ds_write_b128 v4, v[20:23] offset:57600
	s_waitcnt lgkmcnt(0)
	s_barrier
	ds_read_b128 v[4:7], v44 offset:21600
	ds_read_b128 v[0:3], v44
	ds_read_b128 v[8:11], v44 offset:43200
	ds_read_b128 v[12:15], v44 offset:2160
	ds_read_b128 v[16:19], v44 offset:23760
	ds_read_b128 v[20:23], v44 offset:45360
	ds_read_b128 v[40:43], v44 offset:4320
	ds_read_b128 v[45:48], v44 offset:62640
	s_waitcnt lgkmcnt(7)
	v_mul_f64 v[24:25], v[246:247], v[6:7]
	v_mul_f64 v[26:27], v[246:247], v[4:5]
	s_waitcnt lgkmcnt(5)
	v_mul_f64 v[28:29], v[237:238], v[10:11]
	v_mul_f64 v[30:31], v[237:238], v[8:9]
	ds_read_b128 v[49:52], v44 offset:6480
	ds_read_b128 v[53:56], v44 offset:8640
	;; [unrolled: 1-line block ×3, first 2 shown]
	v_fma_f64 v[61:62], v[244:245], v[4:5], v[24:25]
	v_fma_f64 v[63:64], v[244:245], v[6:7], -v[26:27]
	s_waitcnt lgkmcnt(6)
	v_mul_f64 v[24:25], v[229:230], v[18:19]
	v_mul_f64 v[26:27], v[229:230], v[16:17]
	v_fma_f64 v[65:66], v[235:236], v[8:9], v[28:29]
	s_waitcnt lgkmcnt(5)
	v_mul_f64 v[28:29], v[223:224], v[22:23]
	ds_read_b128 v[4:7], v44 offset:25920
	v_fma_f64 v[67:68], v[235:236], v[10:11], -v[30:31]
	v_mul_f64 v[30:31], v[223:224], v[20:21]
	ds_read_b128 v[8:11], v44 offset:47520
	v_fma_f64 v[69:70], v[227:228], v[16:17], v[24:25]
	v_fma_f64 v[71:72], v[227:228], v[18:19], -v[26:27]
	s_waitcnt lgkmcnt(1)
	v_mul_f64 v[24:25], v[219:220], v[6:7]
	v_mul_f64 v[26:27], v[219:220], v[4:5]
	v_fma_f64 v[73:74], v[221:222], v[20:21], v[28:29]
	s_waitcnt lgkmcnt(0)
	v_mul_f64 v[28:29], v[211:212], v[10:11]
	ds_read_b128 v[16:19], v44 offset:28080
	v_fma_f64 v[75:76], v[221:222], v[22:23], -v[30:31]
	v_mul_f64 v[30:31], v[211:212], v[8:9]
	ds_read_b128 v[20:23], v44 offset:49680
	;; [unrolled: 12-line block ×6, first 2 shown]
	v_fma_f64 v[32:33], v[164:165], v[4:5], v[24:25]
	v_fma_f64 v[109:110], v[164:165], v[6:7], -v[26:27]
	s_waitcnt lgkmcnt(1)
	v_mul_f64 v[24:25], v[158:159], v[18:19]
	v_mul_f64 v[26:27], v[158:159], v[16:17]
	v_fma_f64 v[36:37], v[160:161], v[8:9], v[28:29]
	s_waitcnt lgkmcnt(0)
	v_mul_f64 v[28:29], v[154:155], v[22:23]
	ds_read_b128 v[4:7], v44 offset:38880
	v_fma_f64 v[38:39], v[160:161], v[10:11], -v[30:31]
	ds_read_b128 v[8:11], v44 offset:60480
	v_mul_f64 v[30:31], v[154:155], v[20:21]
	v_fma_f64 v[34:35], v[156:157], v[16:17], v[24:25]
	v_fma_f64 v[111:112], v[156:157], v[18:19], -v[26:27]
	s_waitcnt lgkmcnt(1)
	v_mul_f64 v[24:25], v[150:151], v[6:7]
	v_mul_f64 v[26:27], v[150:151], v[4:5]
	v_fma_f64 v[113:114], v[152:153], v[20:21], v[28:29]
	s_waitcnt lgkmcnt(0)
	v_mul_f64 v[20:21], v[138:139], v[10:11]
	ds_read_b128 v[16:19], v44 offset:41040
	v_fma_f64 v[115:116], v[152:153], v[22:23], -v[30:31]
	v_mul_f64 v[28:29], v[138:139], v[8:9]
	v_add_f64 v[117:118], v[63:64], -v[67:68]
	v_fma_f64 v[22:23], v[148:149], v[4:5], v[24:25]
	v_fma_f64 v[24:25], v[148:149], v[6:7], -v[26:27]
	s_waitcnt lgkmcnt(0)
	v_mul_f64 v[6:7], v[142:143], v[16:17]
	v_fma_f64 v[26:27], v[136:137], v[8:9], v[20:21]
	v_mul_f64 v[8:9], v[146:147], v[47:48]
	v_mul_f64 v[4:5], v[142:143], v[18:19]
	v_fma_f64 v[28:29], v[136:137], v[10:11], -v[28:29]
	v_add_f64 v[10:11], v[61:62], v[65:66]
	v_add_f64 v[123:124], v[111:112], -v[115:116]
	v_add_f64 v[125:126], v[34:35], -v[113:114]
	v_fma_f64 v[20:21], v[140:141], v[18:19], -v[6:7]
	v_add_f64 v[6:7], v[0:1], v[61:62]
	v_fma_f64 v[18:19], v[144:145], v[45:46], v[8:9]
	v_add_f64 v[8:9], v[63:64], v[67:68]
	v_fma_f64 v[16:17], v[140:141], v[16:17], v[4:5]
	v_mul_f64 v[4:5], v[146:147], v[45:46]
	v_fma_f64 v[10:11], v[10:11], -0.5, v[0:1]
	v_add_f64 v[63:64], v[2:3], v[63:64]
	v_add_f64 v[61:62], v[61:62], -v[65:66]
	v_add_f64 v[0:1], v[6:7], v[65:66]
	v_add_f64 v[6:7], v[69:70], v[73:74]
	v_fma_f64 v[119:120], v[8:9], -0.5, v[2:3]
	v_add_f64 v[65:66], v[12:13], v[69:70]
	v_fma_f64 v[30:31], v[144:145], v[47:48], -v[4:5]
	v_fma_f64 v[8:9], v[117:118], s[6:7], v[10:11]
	v_fma_f64 v[4:5], v[117:118], s[12:13], v[10:11]
	v_add_f64 v[2:3], v[63:64], v[67:68]
	v_add_f64 v[63:64], v[71:72], v[75:76]
	v_fma_f64 v[67:68], v[6:7], -0.5, v[12:13]
	v_add_f64 v[117:118], v[71:72], -v[75:76]
	v_fma_f64 v[10:11], v[61:62], s[12:13], v[119:120]
	v_fma_f64 v[6:7], v[61:62], s[6:7], v[119:120]
	v_add_f64 v[71:72], v[14:15], v[71:72]
	v_add_f64 v[119:120], v[77:78], v[81:82]
	v_add_f64 v[12:13], v[65:66], v[73:74]
	v_fma_f64 v[121:122], v[63:64], -0.5, v[14:15]
	v_add_f64 v[69:70], v[69:70], -v[73:74]
	v_fma_f64 v[61:62], v[117:118], s[6:7], v[67:68]
	v_fma_f64 v[65:66], v[117:118], s[12:13], v[67:68]
	v_add_f64 v[73:74], v[40:41], v[77:78]
	v_add_f64 v[14:15], v[71:72], v[75:76]
	;; [unrolled: 1-line block ×3, first 2 shown]
	v_fma_f64 v[75:76], v[119:120], -0.5, v[40:41]
	v_add_f64 v[117:118], v[79:80], -v[83:84]
	v_add_f64 v[79:80], v[42:43], v[79:80]
	v_add_f64 v[119:120], v[85:86], v[89:90]
	v_fma_f64 v[63:64], v[69:70], s[12:13], v[121:122]
	v_fma_f64 v[67:68], v[69:70], s[6:7], v[121:122]
	v_add_f64 v[40:41], v[73:74], v[81:82]
	v_fma_f64 v[121:122], v[71:72], -0.5, v[42:43]
	v_add_f64 v[77:78], v[77:78], -v[81:82]
	v_fma_f64 v[69:70], v[117:118], s[6:7], v[75:76]
	v_fma_f64 v[73:74], v[117:118], s[12:13], v[75:76]
	v_add_f64 v[81:82], v[49:50], v[85:86]
	v_add_f64 v[42:43], v[79:80], v[83:84]
	;; [unrolled: 1-line block ×3, first 2 shown]
	v_fma_f64 v[83:84], v[119:120], -0.5, v[49:50]
	v_add_f64 v[117:118], v[87:88], -v[91:92]
	v_add_f64 v[87:88], v[51:52], v[87:88]
	v_add_f64 v[119:120], v[93:94], v[97:98]
	v_fma_f64 v[71:72], v[77:78], s[12:13], v[121:122]
	v_fma_f64 v[75:76], v[77:78], s[6:7], v[121:122]
	v_add_f64 v[49:50], v[81:82], v[89:90]
	v_fma_f64 v[121:122], v[79:80], -0.5, v[51:52]
	v_add_f64 v[85:86], v[85:86], -v[89:90]
	v_fma_f64 v[77:78], v[117:118], s[6:7], v[83:84]
	v_fma_f64 v[81:82], v[117:118], s[12:13], v[83:84]
	v_add_f64 v[51:52], v[87:88], v[91:92]
	v_add_f64 v[87:88], v[53:54], v[93:94]
	;; [unrolled: 1-line block ×3, first 2 shown]
	v_add_f64 v[117:118], v[95:96], -v[99:100]
	v_add_f64 v[95:96], v[55:56], v[95:96]
	v_fma_f64 v[91:92], v[119:120], -0.5, v[53:54]
	v_add_f64 v[119:120], v[101:102], v[105:106]
	v_add_f64 v[93:94], v[93:94], -v[97:98]
	v_fma_f64 v[79:80], v[85:86], s[12:13], v[121:122]
	v_add_f64 v[53:54], v[87:88], v[97:98]
	v_fma_f64 v[89:90], v[89:90], -0.5, v[55:56]
	v_add_f64 v[97:98], v[103:104], v[107:108]
	v_add_f64 v[55:56], v[95:96], v[99:100]
	;; [unrolled: 1-line block ×3, first 2 shown]
	v_fma_f64 v[99:100], v[119:120], -0.5, v[57:58]
	v_add_f64 v[119:120], v[103:104], -v[107:108]
	v_fma_f64 v[83:84], v[85:86], s[6:7], v[121:122]
	v_fma_f64 v[85:86], v[117:118], s[6:7], v[91:92]
	;; [unrolled: 1-line block ×4, first 2 shown]
	v_add_f64 v[91:92], v[59:60], v[103:104]
	v_fma_f64 v[103:104], v[97:98], -0.5, v[59:60]
	v_add_f64 v[101:102], v[101:102], -v[105:106]
	v_fma_f64 v[59:60], v[93:94], s[6:7], v[89:90]
	v_add_f64 v[89:90], v[95:96], v[105:106]
	v_add_f64 v[105:106], v[32:33], v[36:37]
	;; [unrolled: 1-line block ×3, first 2 shown]
	ds_read_b128 v[45:48], v44 offset:12960
	v_fma_f64 v[93:94], v[119:120], s[6:7], v[99:100]
	v_fma_f64 v[97:98], v[119:120], s[12:13], v[99:100]
	v_add_f64 v[119:120], v[34:35], v[113:114]
	v_add_f64 v[91:92], v[91:92], v[107:108]
	v_fma_f64 v[95:96], v[101:102], s[12:13], v[103:104]
	v_fma_f64 v[99:100], v[101:102], s[6:7], v[103:104]
	s_waitcnt lgkmcnt(0)
	v_add_f64 v[101:102], v[47:48], v[109:110]
	v_add_f64 v[107:108], v[45:46], v[32:33]
	v_fma_f64 v[105:106], v[105:106], -0.5, v[45:46]
	v_fma_f64 v[117:118], v[117:118], -0.5, v[47:48]
	ds_read_b128 v[45:48], v44 offset:15120
	v_add_f64 v[109:110], v[109:110], -v[38:39]
	v_add_f64 v[121:122], v[111:112], v[115:116]
	ds_write_b128 v44, v[0:3]
	v_add_f64 v[103:104], v[101:102], v[38:39]
	s_waitcnt lgkmcnt(1)
	v_fma_f64 v[119:120], v[119:120], -0.5, v[45:46]
	v_add_f64 v[101:102], v[107:108], v[36:37]
	v_add_f64 v[38:39], v[32:33], -v[36:37]
	v_add_f64 v[107:108], v[45:46], v[34:35]
	v_add_f64 v[111:112], v[47:48], v[111:112]
	v_fma_f64 v[32:33], v[109:110], s[6:7], v[105:106]
	v_fma_f64 v[36:37], v[109:110], s[12:13], v[105:106]
	v_fma_f64 v[121:122], v[121:122], -0.5, v[47:48]
	v_fma_f64 v[105:106], v[123:124], s[6:7], v[119:120]
	v_fma_f64 v[109:110], v[123:124], s[12:13], v[119:120]
	v_add_f64 v[119:120], v[24:25], v[28:29]
	v_fma_f64 v[34:35], v[38:39], s[12:13], v[117:118]
	v_fma_f64 v[38:39], v[38:39], s[6:7], v[117:118]
	v_add_f64 v[45:46], v[107:108], v[113:114]
	v_add_f64 v[47:48], v[111:112], v[115:116]
	;; [unrolled: 1-line block ×3, first 2 shown]
	ds_read_b128 v[113:116], v44 offset:17280
	v_add_f64 v[123:124], v[22:23], -v[26:27]
	v_fma_f64 v[107:108], v[125:126], s[12:13], v[121:122]
	v_fma_f64 v[111:112], v[125:126], s[6:7], v[121:122]
	v_add_f64 v[121:122], v[24:25], -v[28:29]
	s_waitcnt lgkmcnt(0)
	v_fma_f64 v[119:120], v[119:120], -0.5, v[115:116]
	v_add_f64 v[115:116], v[115:116], v[24:25]
	v_fma_f64 v[117:118], v[117:118], -0.5, v[113:114]
	v_add_f64 v[113:114], v[113:114], v[22:23]
	v_add_f64 v[24:25], v[115:116], v[28:29]
	v_fma_f64 v[28:29], v[123:124], s[12:13], v[119:120]
	v_fma_f64 v[115:116], v[123:124], s[6:7], v[119:120]
	v_add_f64 v[123:124], v[20:21], v[30:31]
	v_add_f64 v[22:23], v[113:114], v[26:27]
	v_fma_f64 v[26:27], v[121:122], s[6:7], v[117:118]
	v_fma_f64 v[113:114], v[121:122], s[12:13], v[117:118]
	ds_read_b128 v[117:120], v44 offset:19440
	v_add_f64 v[121:122], v[16:17], v[18:19]
	s_waitcnt lgkmcnt(0)
	v_fma_f64 v[123:124], v[123:124], -0.5, v[119:120]
	v_add_f64 v[119:120], v[119:120], v[20:21]
	v_add_f64 v[20:21], v[20:21], -v[30:31]
	v_fma_f64 v[121:122], v[121:122], -0.5, v[117:118]
	v_add_f64 v[117:118], v[117:118], v[16:17]
	v_add_f64 v[119:120], v[119:120], v[30:31]
	v_add_f64 v[30:31], v[16:17], -v[18:19]
	v_fma_f64 v[16:17], v[20:21], s[6:7], v[121:122]
	v_add_f64 v[117:118], v[117:118], v[18:19]
	v_fma_f64 v[121:122], v[20:21], s[12:13], v[121:122]
	v_fma_f64 v[18:19], v[30:31], s[12:13], v[123:124]
	;; [unrolled: 1-line block ×3, first 2 shown]
	buffer_load_dword v30, off, s[40:43], 0 offset:32 ; 4-byte Folded Reload
	buffer_load_dword v31, off, s[40:43], 0 offset:36 ; 4-byte Folded Reload
	ds_write_b128 v44, v[8:11] offset:21600
	ds_write_b128 v44, v[4:7] offset:43200
	;; [unrolled: 1-line block ×29, first 2 shown]
	s_waitcnt vmcnt(0) lgkmcnt(0)
	s_barrier
	ds_read_b128 v[0:3], v44
	buffer_load_dword v10, off, s[40:43], 0 offset:312 ; 4-byte Folded Reload
	buffer_load_dword v11, off, s[40:43], 0 offset:316 ; 4-byte Folded Reload
	;; [unrolled: 1-line block ×4, first 2 shown]
	v_mad_u64_u32 v[20:21], s[0:1], s10, v30, 0
	v_mov_b32_e32 v4, v21
	s_waitcnt vmcnt(0) lgkmcnt(0)
	v_mul_f64 v[5:6], v[12:13], v[2:3]
	v_mad_u64_u32 v[7:8], s[0:1], s11, v30, v[4:5]
	v_mul_f64 v[8:9], v[12:13], v[0:1]
	buffer_load_dword v12, off, s[40:43], 0 offset:488 ; 4-byte Folded Reload
	v_fma_f64 v[4:5], v[10:11], v[0:1], v[5:6]
	v_mov_b32_e32 v0, v10
	v_mov_b32_e32 v1, v11
	;; [unrolled: 1-line block ×3, first 2 shown]
	v_fma_f64 v[6:7], v[0:1], v[2:3], -v[8:9]
	s_waitcnt vmcnt(0)
	v_mad_u64_u32 v[10:11], s[0:1], s8, v12, 0
	s_mov_b32 s0, 0xc0898b71
	s_mov_b32 s1, 0x3f302e85
	v_mov_b32_e32 v0, v11
	v_mad_u64_u32 v[8:9], s[4:5], s9, v12, v[0:1]
	ds_read_b128 v[0:3], v44 offset:6480
	v_mul_f64 v[4:5], v[4:5], s[0:1]
	v_mov_b32_e32 v11, v8
	v_lshlrev_b64 v[8:9], 4, v[20:21]
	buffer_load_dword v18, off, s[40:43], 0 offset:296 ; 4-byte Folded Reload
	buffer_load_dword v19, off, s[40:43], 0 offset:300 ; 4-byte Folded Reload
	;; [unrolled: 1-line block ×4, first 2 shown]
	v_mul_f64 v[6:7], v[6:7], s[0:1]
	v_add_co_u32_e32 v16, vcc, s2, v8
	v_mov_b32_e32 v8, s3
	v_addc_co_u32_e32 v17, vcc, v8, v9, vcc
	v_lshlrev_b64 v[8:9], 4, v[10:11]
	s_mul_i32 s2, s9, 0x1950
	s_mul_hi_u32 s3, s8, 0x1950
	s_add_i32 s2, s3, s2
	s_mul_i32 s3, s8, 0x1950
	s_waitcnt vmcnt(0) lgkmcnt(0)
	v_mul_f64 v[12:13], v[20:21], v[2:3]
	v_mul_f64 v[14:15], v[20:21], v[0:1]
	v_fma_f64 v[10:11], v[18:19], v[0:1], v[12:13]
	v_fma_f64 v[12:13], v[18:19], v[2:3], -v[14:15]
	v_add_co_u32_e32 v14, vcc, v16, v8
	v_addc_co_u32_e32 v15, vcc, v17, v9, vcc
	global_store_dwordx4 v[14:15], v[4:7], off
	ds_read_b128 v[0:3], v44 offset:12960
	v_mul_f64 v[4:5], v[10:11], s[0:1]
	buffer_load_dword v8, off, s[40:43], 0 offset:280 ; 4-byte Folded Reload
	buffer_load_dword v9, off, s[40:43], 0 offset:284 ; 4-byte Folded Reload
	;; [unrolled: 1-line block ×4, first 2 shown]
	v_mul_f64 v[6:7], v[12:13], s[0:1]
	v_add_co_u32_e32 v14, vcc, s3, v14
	s_waitcnt vmcnt(0) lgkmcnt(0)
	v_mul_f64 v[12:13], v[10:11], v[2:3]
	v_mul_f64 v[16:17], v[10:11], v[0:1]
	v_mov_b32_e32 v19, v9
	v_mov_b32_e32 v18, v8
	ds_read_b128 v[8:11], v44 offset:19440
	v_fma_f64 v[0:1], v[18:19], v[0:1], v[12:13]
	v_fma_f64 v[2:3], v[18:19], v[2:3], -v[16:17]
	buffer_load_dword v18, off, s[40:43], 0 offset:248 ; 4-byte Folded Reload
	buffer_load_dword v19, off, s[40:43], 0 offset:252 ; 4-byte Folded Reload
	;; [unrolled: 1-line block ×4, first 2 shown]
	v_mov_b32_e32 v16, s2
	v_addc_co_u32_e32 v15, vcc, v15, v16, vcc
	global_store_dwordx4 v[14:15], v[4:7], off
	ds_read_b128 v[4:7], v44 offset:25920
	v_mul_f64 v[0:1], v[0:1], s[0:1]
	v_mul_f64 v[2:3], v[2:3], s[0:1]
	v_add_co_u32_e32 v14, vcc, s3, v14
	s_waitcnt vmcnt(1) lgkmcnt(1)
	v_mul_f64 v[12:13], v[20:21], v[10:11]
	v_mul_f64 v[16:17], v[20:21], v[8:9]
	v_fma_f64 v[8:9], v[18:19], v[8:9], v[12:13]
	v_fma_f64 v[10:11], v[18:19], v[10:11], -v[16:17]
	buffer_load_dword v18, off, s[40:43], 0 offset:216 ; 4-byte Folded Reload
	buffer_load_dword v19, off, s[40:43], 0 offset:220 ; 4-byte Folded Reload
	buffer_load_dword v20, off, s[40:43], 0 offset:224 ; 4-byte Folded Reload
	buffer_load_dword v21, off, s[40:43], 0 offset:228 ; 4-byte Folded Reload
	v_mov_b32_e32 v12, s2
	v_addc_co_u32_e32 v15, vcc, v15, v12, vcc
	global_store_dwordx4 v[14:15], v[0:3], off
	v_add_co_u32_e32 v14, vcc, s3, v14
	v_mul_f64 v[0:1], v[8:9], s[0:1]
	v_mul_f64 v[2:3], v[10:11], s[0:1]
	ds_read_b128 v[8:11], v44 offset:32400
	s_waitcnt vmcnt(1) lgkmcnt(1)
	v_mul_f64 v[12:13], v[20:21], v[6:7]
	v_mul_f64 v[16:17], v[20:21], v[4:5]
	v_fma_f64 v[4:5], v[18:19], v[4:5], v[12:13]
	v_fma_f64 v[6:7], v[18:19], v[6:7], -v[16:17]
	buffer_load_dword v18, off, s[40:43], 0 offset:200 ; 4-byte Folded Reload
	buffer_load_dword v19, off, s[40:43], 0 offset:204 ; 4-byte Folded Reload
	buffer_load_dword v20, off, s[40:43], 0 offset:208 ; 4-byte Folded Reload
	buffer_load_dword v21, off, s[40:43], 0 offset:212 ; 4-byte Folded Reload
	v_mov_b32_e32 v16, s2
	v_addc_co_u32_e32 v15, vcc, v15, v16, vcc
	global_store_dwordx4 v[14:15], v[0:3], off
	v_add_co_u32_e32 v14, vcc, s3, v14
	v_mul_f64 v[0:1], v[4:5], s[0:1]
	v_mul_f64 v[2:3], v[6:7], s[0:1]
	ds_read_b128 v[4:7], v44 offset:38880
	s_waitcnt vmcnt(1) lgkmcnt(1)
	v_mul_f64 v[12:13], v[20:21], v[10:11]
	v_mul_f64 v[16:17], v[20:21], v[8:9]
	v_fma_f64 v[8:9], v[18:19], v[8:9], v[12:13]
	v_fma_f64 v[10:11], v[18:19], v[10:11], -v[16:17]
	buffer_load_dword v18, off, s[40:43], 0 offset:184 ; 4-byte Folded Reload
	buffer_load_dword v19, off, s[40:43], 0 offset:188 ; 4-byte Folded Reload
	buffer_load_dword v20, off, s[40:43], 0 offset:192 ; 4-byte Folded Reload
	buffer_load_dword v21, off, s[40:43], 0 offset:196 ; 4-byte Folded Reload
	v_mov_b32_e32 v12, s2
	v_addc_co_u32_e32 v15, vcc, v15, v12, vcc
	global_store_dwordx4 v[14:15], v[0:3], off
	v_add_co_u32_e32 v14, vcc, s3, v14
	v_mul_f64 v[0:1], v[8:9], s[0:1]
	v_mul_f64 v[2:3], v[10:11], s[0:1]
	ds_read_b128 v[8:11], v44 offset:45360
	s_waitcnt vmcnt(1) lgkmcnt(1)
	v_mul_f64 v[12:13], v[20:21], v[6:7]
	v_mul_f64 v[16:17], v[20:21], v[4:5]
	v_fma_f64 v[4:5], v[18:19], v[4:5], v[12:13]
	v_fma_f64 v[6:7], v[18:19], v[6:7], -v[16:17]
	buffer_load_dword v18, off, s[40:43], 0 offset:168 ; 4-byte Folded Reload
	buffer_load_dword v19, off, s[40:43], 0 offset:172 ; 4-byte Folded Reload
	buffer_load_dword v20, off, s[40:43], 0 offset:176 ; 4-byte Folded Reload
	buffer_load_dword v21, off, s[40:43], 0 offset:180 ; 4-byte Folded Reload
	v_mov_b32_e32 v16, s2
	v_addc_co_u32_e32 v15, vcc, v15, v16, vcc
	global_store_dwordx4 v[14:15], v[0:3], off
	v_add_co_u32_e32 v14, vcc, s3, v14
	v_mul_f64 v[0:1], v[4:5], s[0:1]
	v_mul_f64 v[2:3], v[6:7], s[0:1]
	ds_read_b128 v[4:7], v44 offset:51840
	s_waitcnt vmcnt(1) lgkmcnt(1)
	v_mul_f64 v[12:13], v[20:21], v[10:11]
	v_mul_f64 v[16:17], v[20:21], v[8:9]
	v_fma_f64 v[8:9], v[18:19], v[8:9], v[12:13]
	v_fma_f64 v[10:11], v[18:19], v[10:11], -v[16:17]
	buffer_load_dword v18, off, s[40:43], 0 offset:152 ; 4-byte Folded Reload
	buffer_load_dword v19, off, s[40:43], 0 offset:156 ; 4-byte Folded Reload
	buffer_load_dword v20, off, s[40:43], 0 offset:160 ; 4-byte Folded Reload
	buffer_load_dword v21, off, s[40:43], 0 offset:164 ; 4-byte Folded Reload
	v_mov_b32_e32 v12, s2
	v_addc_co_u32_e32 v15, vcc, v15, v12, vcc
	global_store_dwordx4 v[14:15], v[0:3], off
	v_add_co_u32_e32 v14, vcc, s3, v14
	v_mul_f64 v[0:1], v[8:9], s[0:1]
	v_mul_f64 v[2:3], v[10:11], s[0:1]
	ds_read_b128 v[8:11], v44 offset:58320
	s_waitcnt vmcnt(1) lgkmcnt(1)
	v_mul_f64 v[12:13], v[20:21], v[6:7]
	v_mul_f64 v[16:17], v[20:21], v[4:5]
	v_fma_f64 v[4:5], v[18:19], v[4:5], v[12:13]
	v_fma_f64 v[6:7], v[18:19], v[6:7], -v[16:17]
	buffer_load_dword v18, off, s[40:43], 0 offset:120 ; 4-byte Folded Reload
	buffer_load_dword v19, off, s[40:43], 0 offset:124 ; 4-byte Folded Reload
	buffer_load_dword v20, off, s[40:43], 0 offset:128 ; 4-byte Folded Reload
	buffer_load_dword v21, off, s[40:43], 0 offset:132 ; 4-byte Folded Reload
	v_mov_b32_e32 v16, s2
	v_addc_co_u32_e32 v15, vcc, v15, v16, vcc
	global_store_dwordx4 v[14:15], v[0:3], off
	v_add_co_u32_e32 v14, vcc, s3, v14
	v_mul_f64 v[0:1], v[4:5], s[0:1]
	v_mul_f64 v[2:3], v[6:7], s[0:1]
	ds_read_b128 v[4:7], v44 offset:2160
	s_waitcnt vmcnt(1) lgkmcnt(1)
	v_mul_f64 v[12:13], v[20:21], v[10:11]
	v_mul_f64 v[16:17], v[20:21], v[8:9]
	v_fma_f64 v[8:9], v[18:19], v[8:9], v[12:13]
	v_fma_f64 v[10:11], v[18:19], v[10:11], -v[16:17]
	buffer_load_dword v18, off, s[40:43], 0 offset:472 ; 4-byte Folded Reload
	buffer_load_dword v19, off, s[40:43], 0 offset:476 ; 4-byte Folded Reload
	buffer_load_dword v20, off, s[40:43], 0 offset:480 ; 4-byte Folded Reload
	buffer_load_dword v21, off, s[40:43], 0 offset:484 ; 4-byte Folded Reload
	v_mov_b32_e32 v12, s2
	v_addc_co_u32_e32 v15, vcc, v15, v12, vcc
	global_store_dwordx4 v[14:15], v[0:3], off
	v_add_co_u32_e32 v14, vcc, s3, v14
	v_mul_f64 v[0:1], v[8:9], s[0:1]
	v_mul_f64 v[2:3], v[10:11], s[0:1]
	ds_read_b128 v[8:11], v44 offset:8640
	s_waitcnt vmcnt(1) lgkmcnt(1)
	v_mul_f64 v[12:13], v[20:21], v[6:7]
	v_mul_f64 v[16:17], v[20:21], v[4:5]
	buffer_load_dword v20, off, s[40:43], 0 offset:456 ; 4-byte Folded Reload
	buffer_load_dword v21, off, s[40:43], 0 offset:460 ; 4-byte Folded Reload
	;; [unrolled: 1-line block ×4, first 2 shown]
	v_fma_f64 v[4:5], v[18:19], v[4:5], v[12:13]
	v_fma_f64 v[6:7], v[18:19], v[6:7], -v[16:17]
	v_mov_b32_e32 v16, s2
	v_addc_co_u32_e32 v15, vcc, v15, v16, vcc
	global_store_dwordx4 v[14:15], v[0:3], off
	v_mov_b32_e32 v19, 0xffff24a0
	v_mad_u64_u32 v[14:15], s[4:5], s8, v19, v[14:15]
	v_mul_f64 v[0:1], v[4:5], s[0:1]
	v_mul_f64 v[2:3], v[6:7], s[0:1]
	ds_read_b128 v[4:7], v44 offset:15120
	s_mul_i32 s4, s9, 0xffff24a0
	s_sub_i32 s4, s4, s8
	v_add_u32_e32 v15, s4, v15
	v_mov_b32_e32 v18, s2
	s_waitcnt vmcnt(1) lgkmcnt(1)
	v_mul_f64 v[12:13], v[22:23], v[10:11]
	v_mul_f64 v[16:17], v[22:23], v[8:9]
	v_fma_f64 v[8:9], v[20:21], v[8:9], v[12:13]
	v_fma_f64 v[10:11], v[20:21], v[10:11], -v[16:17]
	buffer_load_dword v20, off, s[40:43], 0 offset:440 ; 4-byte Folded Reload
	buffer_load_dword v21, off, s[40:43], 0 offset:444 ; 4-byte Folded Reload
	;; [unrolled: 1-line block ×4, first 2 shown]
	s_waitcnt vmcnt(0) lgkmcnt(0)
	v_mul_f64 v[12:13], v[22:23], v[6:7]
	v_mul_f64 v[16:17], v[22:23], v[4:5]
	global_store_dwordx4 v[14:15], v[0:3], off
	v_add_co_u32_e32 v14, vcc, s3, v14
	v_mul_f64 v[0:1], v[8:9], s[0:1]
	v_mul_f64 v[2:3], v[10:11], s[0:1]
	ds_read_b128 v[8:11], v44 offset:21600
	v_fma_f64 v[4:5], v[20:21], v[4:5], v[12:13]
	v_fma_f64 v[6:7], v[20:21], v[6:7], -v[16:17]
	buffer_load_dword v20, off, s[40:43], 0 offset:424 ; 4-byte Folded Reload
	buffer_load_dword v21, off, s[40:43], 0 offset:428 ; 4-byte Folded Reload
	buffer_load_dword v22, off, s[40:43], 0 offset:432 ; 4-byte Folded Reload
	buffer_load_dword v23, off, s[40:43], 0 offset:436 ; 4-byte Folded Reload
	v_mov_b32_e32 v16, s2
	v_addc_co_u32_e32 v15, vcc, v15, v16, vcc
	global_store_dwordx4 v[14:15], v[0:3], off
	v_add_co_u32_e32 v14, vcc, s3, v14
	v_mul_f64 v[0:1], v[4:5], s[0:1]
	v_mul_f64 v[2:3], v[6:7], s[0:1]
	ds_read_b128 v[4:7], v44 offset:28080
	s_waitcnt vmcnt(1) lgkmcnt(1)
	v_mul_f64 v[12:13], v[22:23], v[10:11]
	v_mul_f64 v[16:17], v[22:23], v[8:9]
	v_fma_f64 v[8:9], v[20:21], v[8:9], v[12:13]
	v_fma_f64 v[10:11], v[20:21], v[10:11], -v[16:17]
	buffer_load_dword v20, off, s[40:43], 0 offset:408 ; 4-byte Folded Reload
	buffer_load_dword v21, off, s[40:43], 0 offset:412 ; 4-byte Folded Reload
	buffer_load_dword v22, off, s[40:43], 0 offset:416 ; 4-byte Folded Reload
	buffer_load_dword v23, off, s[40:43], 0 offset:420 ; 4-byte Folded Reload
	v_mov_b32_e32 v12, s2
	v_addc_co_u32_e32 v15, vcc, v15, v12, vcc
	global_store_dwordx4 v[14:15], v[0:3], off
	v_add_co_u32_e32 v14, vcc, s3, v14
	v_mul_f64 v[0:1], v[8:9], s[0:1]
	v_mul_f64 v[2:3], v[10:11], s[0:1]
	ds_read_b128 v[8:11], v44 offset:34560
	s_waitcnt vmcnt(1) lgkmcnt(1)
	v_mul_f64 v[12:13], v[22:23], v[6:7]
	v_mul_f64 v[16:17], v[22:23], v[4:5]
	v_fma_f64 v[4:5], v[20:21], v[4:5], v[12:13]
	v_fma_f64 v[6:7], v[20:21], v[6:7], -v[16:17]
	buffer_load_dword v20, off, s[40:43], 0 offset:392 ; 4-byte Folded Reload
	buffer_load_dword v21, off, s[40:43], 0 offset:396 ; 4-byte Folded Reload
	buffer_load_dword v22, off, s[40:43], 0 offset:400 ; 4-byte Folded Reload
	buffer_load_dword v23, off, s[40:43], 0 offset:404 ; 4-byte Folded Reload
	v_mov_b32_e32 v16, s2
	v_addc_co_u32_e32 v15, vcc, v15, v16, vcc
	global_store_dwordx4 v[14:15], v[0:3], off
	v_add_co_u32_e32 v14, vcc, s3, v14
	v_mul_f64 v[0:1], v[4:5], s[0:1]
	v_mul_f64 v[2:3], v[6:7], s[0:1]
	ds_read_b128 v[4:7], v44 offset:41040
	s_waitcnt vmcnt(1) lgkmcnt(1)
	v_mul_f64 v[12:13], v[22:23], v[10:11]
	v_mul_f64 v[16:17], v[22:23], v[8:9]
	v_fma_f64 v[8:9], v[20:21], v[8:9], v[12:13]
	v_fma_f64 v[10:11], v[20:21], v[10:11], -v[16:17]
	buffer_load_dword v20, off, s[40:43], 0 offset:376 ; 4-byte Folded Reload
	buffer_load_dword v21, off, s[40:43], 0 offset:380 ; 4-byte Folded Reload
	buffer_load_dword v22, off, s[40:43], 0 offset:384 ; 4-byte Folded Reload
	buffer_load_dword v23, off, s[40:43], 0 offset:388 ; 4-byte Folded Reload
	v_mov_b32_e32 v12, s2
	v_addc_co_u32_e32 v15, vcc, v15, v12, vcc
	global_store_dwordx4 v[14:15], v[0:3], off
	v_add_co_u32_e32 v14, vcc, s3, v14
	v_mul_f64 v[0:1], v[8:9], s[0:1]
	v_mul_f64 v[2:3], v[10:11], s[0:1]
	ds_read_b128 v[8:11], v44 offset:47520
	v_addc_co_u32_e32 v15, vcc, v15, v18, vcc
	s_waitcnt vmcnt(1) lgkmcnt(1)
	v_mul_f64 v[12:13], v[22:23], v[6:7]
	v_mul_f64 v[16:17], v[22:23], v[4:5]
	v_fma_f64 v[4:5], v[20:21], v[4:5], v[12:13]
	v_fma_f64 v[6:7], v[20:21], v[6:7], -v[16:17]
	buffer_load_dword v20, off, s[40:43], 0 offset:360 ; 4-byte Folded Reload
	buffer_load_dword v21, off, s[40:43], 0 offset:364 ; 4-byte Folded Reload
	;; [unrolled: 1-line block ×4, first 2 shown]
	s_waitcnt vmcnt(0) lgkmcnt(0)
	v_mul_f64 v[12:13], v[22:23], v[10:11]
	global_store_dwordx4 v[14:15], v[0:3], off
	v_mul_f64 v[16:17], v[22:23], v[8:9]
	v_mul_f64 v[0:1], v[4:5], s[0:1]
	;; [unrolled: 1-line block ×3, first 2 shown]
	v_add_co_u32_e32 v14, vcc, s3, v14
	ds_read_b128 v[4:7], v44 offset:54000
	v_fma_f64 v[8:9], v[20:21], v[8:9], v[12:13]
	v_mov_b32_e32 v12, s2
	v_addc_co_u32_e32 v15, vcc, v15, v12, vcc
	global_store_dwordx4 v[14:15], v[0:3], off
	buffer_load_dword v0, off, s[40:43], 0 offset:344 ; 4-byte Folded Reload
	s_nop 0
	buffer_load_dword v1, off, s[40:43], 0 offset:348 ; 4-byte Folded Reload
	buffer_load_dword v2, off, s[40:43], 0 offset:352 ; 4-byte Folded Reload
	buffer_load_dword v3, off, s[40:43], 0 offset:356 ; 4-byte Folded Reload
	v_fma_f64 v[10:11], v[20:21], v[10:11], -v[16:17]
	v_add_co_u32_e32 v14, vcc, s3, v14
	v_addc_co_u32_e32 v15, vcc, v15, v18, vcc
	s_waitcnt vmcnt(0) lgkmcnt(0)
	v_mul_f64 v[12:13], v[2:3], v[6:7]
	v_mul_f64 v[16:17], v[2:3], v[4:5]
	v_mov_b32_e32 v21, v1
	v_mov_b32_e32 v20, v0
	v_mul_f64 v[0:1], v[8:9], s[0:1]
	v_mul_f64 v[2:3], v[10:11], s[0:1]
	ds_read_b128 v[8:11], v44 offset:60480
	v_fma_f64 v[4:5], v[20:21], v[4:5], v[12:13]
	v_fma_f64 v[6:7], v[20:21], v[6:7], -v[16:17]
	buffer_load_dword v20, off, s[40:43], 0 offset:328 ; 4-byte Folded Reload
	buffer_load_dword v21, off, s[40:43], 0 offset:332 ; 4-byte Folded Reload
	;; [unrolled: 1-line block ×4, first 2 shown]
	v_mul_f64 v[4:5], v[4:5], s[0:1]
	global_store_dwordx4 v[14:15], v[0:3], off
	ds_read_b128 v[0:3], v44 offset:4320
	v_mul_f64 v[6:7], v[6:7], s[0:1]
	s_waitcnt vmcnt(1) lgkmcnt(1)
	v_mul_f64 v[12:13], v[22:23], v[10:11]
	v_mul_f64 v[16:17], v[22:23], v[8:9]
	buffer_load_dword v22, off, s[40:43], 0 offset:264 ; 4-byte Folded Reload
	buffer_load_dword v23, off, s[40:43], 0 offset:268 ; 4-byte Folded Reload
	;; [unrolled: 1-line block ×4, first 2 shown]
	v_fma_f64 v[8:9], v[20:21], v[8:9], v[12:13]
	v_fma_f64 v[10:11], v[20:21], v[10:11], -v[16:17]
	v_add_co_u32_e32 v20, vcc, s3, v14
	v_mov_b32_e32 v14, s2
	v_addc_co_u32_e32 v21, vcc, v15, v14, vcc
	v_mul_f64 v[8:9], v[8:9], s[0:1]
	v_mul_f64 v[10:11], v[10:11], s[0:1]
	s_waitcnt vmcnt(0) lgkmcnt(0)
	v_mul_f64 v[12:13], v[24:25], v[2:3]
	v_mul_f64 v[16:17], v[24:25], v[0:1]
	v_fma_f64 v[0:1], v[22:23], v[0:1], v[12:13]
	ds_read_b128 v[12:15], v44 offset:10800
	buffer_load_dword v28, off, s[40:43], 0 offset:232 ; 4-byte Folded Reload
	buffer_load_dword v29, off, s[40:43], 0 offset:236 ; 4-byte Folded Reload
	;; [unrolled: 1-line block ×4, first 2 shown]
	v_fma_f64 v[2:3], v[22:23], v[2:3], -v[16:17]
	v_add_co_u32_e32 v22, vcc, s3, v20
	v_mov_b32_e32 v16, s2
	v_addc_co_u32_e32 v23, vcc, v21, v16, vcc
	v_mul_f64 v[0:1], v[0:1], s[0:1]
	v_mul_f64 v[2:3], v[2:3], s[0:1]
	s_waitcnt vmcnt(0) lgkmcnt(0)
	v_mul_f64 v[24:25], v[30:31], v[14:15]
	v_mul_f64 v[26:27], v[30:31], v[12:13]
	v_mov_b32_e32 v31, v29
	v_mov_b32_e32 v30, v28
	v_mad_u64_u32 v[28:29], s[6:7], s8, v19, v[22:23]
	ds_read_b128 v[16:19], v44 offset:17280
	global_store_dwordx4 v[20:21], v[4:7], off
	global_store_dwordx4 v[22:23], v[8:11], off
	buffer_load_dword v6, off, s[40:43], 0 offset:136 ; 4-byte Folded Reload
	s_nop 0
	buffer_load_dword v7, off, s[40:43], 0 offset:140 ; 4-byte Folded Reload
	buffer_load_dword v8, off, s[40:43], 0 offset:144 ; 4-byte Folded Reload
	;; [unrolled: 1-line block ×3, first 2 shown]
	v_fma_f64 v[12:13], v[30:31], v[12:13], v[24:25]
	v_fma_f64 v[14:15], v[30:31], v[14:15], -v[26:27]
	v_add_u32_e32 v29, s4, v29
	global_store_dwordx4 v[28:29], v[0:3], off
	s_waitcnt vmcnt(1) lgkmcnt(0)
	v_mul_f64 v[4:5], v[8:9], v[18:19]
	v_mul_f64 v[8:9], v[8:9], v[16:17]
	;; [unrolled: 1-line block ×4, first 2 shown]
	v_mov_b32_e32 v14, v7
	v_mov_b32_e32 v13, v6
	v_add_co_u32_e32 v12, vcc, s3, v28
	v_fma_f64 v[10:11], v[6:7], v[16:17], v[4:5]
	ds_read_b128 v[4:7], v44 offset:23760
	v_fma_f64 v[8:9], v[13:14], v[18:19], -v[8:9]
	buffer_load_dword v18, off, s[40:43], 0 offset:104 ; 4-byte Folded Reload
	buffer_load_dword v19, off, s[40:43], 0 offset:108 ; 4-byte Folded Reload
	buffer_load_dword v20, off, s[40:43], 0 offset:112 ; 4-byte Folded Reload
	buffer_load_dword v21, off, s[40:43], 0 offset:116 ; 4-byte Folded Reload
	v_mov_b32_e32 v13, s2
	v_addc_co_u32_e32 v13, vcc, v29, v13, vcc
	global_store_dwordx4 v[12:13], v[0:3], off
	v_add_co_u32_e32 v12, vcc, s3, v12
	v_mul_f64 v[0:1], v[10:11], s[0:1]
	v_mul_f64 v[2:3], v[8:9], s[0:1]
	ds_read_b128 v[8:11], v44 offset:30240
	s_waitcnt vmcnt(1) lgkmcnt(1)
	v_mul_f64 v[14:15], v[20:21], v[6:7]
	v_mul_f64 v[16:17], v[20:21], v[4:5]
	v_fma_f64 v[4:5], v[18:19], v[4:5], v[14:15]
	v_fma_f64 v[6:7], v[18:19], v[6:7], -v[16:17]
	buffer_load_dword v18, off, s[40:43], 0 offset:88 ; 4-byte Folded Reload
	buffer_load_dword v19, off, s[40:43], 0 offset:92 ; 4-byte Folded Reload
	buffer_load_dword v20, off, s[40:43], 0 offset:96 ; 4-byte Folded Reload
	buffer_load_dword v21, off, s[40:43], 0 offset:100 ; 4-byte Folded Reload
	v_mov_b32_e32 v16, s2
	v_addc_co_u32_e32 v13, vcc, v13, v16, vcc
	global_store_dwordx4 v[12:13], v[0:3], off
	v_add_co_u32_e32 v12, vcc, s3, v12
	v_mul_f64 v[0:1], v[4:5], s[0:1]
	v_mul_f64 v[2:3], v[6:7], s[0:1]
	ds_read_b128 v[4:7], v44 offset:36720
	s_waitcnt vmcnt(1) lgkmcnt(1)
	v_mul_f64 v[14:15], v[20:21], v[10:11]
	v_mul_f64 v[16:17], v[20:21], v[8:9]
	v_fma_f64 v[8:9], v[18:19], v[8:9], v[14:15]
	;; [unrolled: 16-line block ×4, first 2 shown]
	v_fma_f64 v[10:11], v[18:19], v[10:11], -v[16:17]
	buffer_load_dword v19, off, s[40:43], 0 offset:40 ; 4-byte Folded Reload
	buffer_load_dword v20, off, s[40:43], 0 offset:44 ; 4-byte Folded Reload
	;; [unrolled: 1-line block ×4, first 2 shown]
	v_mov_b32_e32 v14, s2
	v_addc_co_u32_e32 v13, vcc, v13, v14, vcc
	global_store_dwordx4 v[12:13], v[0:3], off
	v_add_co_u32_e32 v12, vcc, s3, v12
	v_mul_f64 v[0:1], v[8:9], s[0:1]
	v_mul_f64 v[2:3], v[10:11], s[0:1]
	v_mov_b32_e32 v18, s2
	v_addc_co_u32_e32 v13, vcc, v13, v18, vcc
	global_store_dwordx4 v[12:13], v[0:3], off
	ds_read_b128 v[0:3], v44 offset:62640
	v_add_co_u32_e32 v12, vcc, s3, v12
	s_waitcnt vmcnt(2) lgkmcnt(1)
	v_mul_f64 v[14:15], v[21:22], v[6:7]
	v_mul_f64 v[16:17], v[21:22], v[4:5]
	v_fma_f64 v[8:9], v[19:20], v[4:5], v[14:15]
	v_fma_f64 v[10:11], v[19:20], v[6:7], -v[16:17]
	ds_read_b128 v[4:7], v44 offset:56160
	buffer_load_dword v18, off, s[40:43], 0 offset:16 ; 4-byte Folded Reload
	buffer_load_dword v19, off, s[40:43], 0 offset:20 ; 4-byte Folded Reload
	;; [unrolled: 1-line block ×4, first 2 shown]
	buffer_load_dword v24, off, s[40:43], 0 ; 4-byte Folded Reload
	buffer_load_dword v25, off, s[40:43], 0 offset:4 ; 4-byte Folded Reload
	buffer_load_dword v26, off, s[40:43], 0 offset:8 ; 4-byte Folded Reload
	;; [unrolled: 1-line block ×3, first 2 shown]
	v_mul_f64 v[8:9], v[8:9], s[0:1]
	v_mul_f64 v[10:11], v[10:11], s[0:1]
	s_waitcnt vmcnt(4) lgkmcnt(0)
	v_mul_f64 v[14:15], v[20:21], v[6:7]
	v_mul_f64 v[16:17], v[20:21], v[4:5]
	v_mov_b32_e32 v23, v19
	v_mov_b32_e32 v22, v18
	s_waitcnt vmcnt(0)
	v_mul_f64 v[18:19], v[26:27], v[2:3]
	v_mul_f64 v[20:21], v[26:27], v[0:1]
	v_fma_f64 v[4:5], v[22:23], v[4:5], v[14:15]
	v_fma_f64 v[6:7], v[22:23], v[6:7], -v[16:17]
	v_mov_b32_e32 v14, s2
	v_addc_co_u32_e32 v13, vcc, v13, v14, vcc
	v_fma_f64 v[14:15], v[24:25], v[0:1], v[18:19]
	v_fma_f64 v[16:17], v[24:25], v[2:3], -v[20:21]
	global_store_dwordx4 v[12:13], v[8:11], off
	v_mul_f64 v[0:1], v[4:5], s[0:1]
	v_mul_f64 v[2:3], v[6:7], s[0:1]
	v_add_co_u32_e32 v8, vcc, s3, v12
	v_mov_b32_e32 v9, s2
	v_mul_f64 v[4:5], v[14:15], s[0:1]
	v_mul_f64 v[6:7], v[16:17], s[0:1]
	v_addc_co_u32_e32 v9, vcc, v13, v9, vcc
	global_store_dwordx4 v[8:9], v[0:3], off
	s_nop 0
	v_add_co_u32_e32 v0, vcc, s3, v8
	v_mov_b32_e32 v1, s2
	v_addc_co_u32_e32 v1, vcc, v9, v1, vcc
	global_store_dwordx4 v[0:1], v[4:7], off
.LBB0_2:
	s_endpgm
	.section	.rodata,"a",@progbits
	.p2align	6, 0x0
	.amdhsa_kernel bluestein_single_back_len4050_dim1_dp_op_CI_CI
		.amdhsa_group_segment_fixed_size 64800
		.amdhsa_private_segment_fixed_size 1812
		.amdhsa_kernarg_size 104
		.amdhsa_user_sgpr_count 6
		.amdhsa_user_sgpr_private_segment_buffer 1
		.amdhsa_user_sgpr_dispatch_ptr 0
		.amdhsa_user_sgpr_queue_ptr 0
		.amdhsa_user_sgpr_kernarg_segment_ptr 1
		.amdhsa_user_sgpr_dispatch_id 0
		.amdhsa_user_sgpr_flat_scratch_init 0
		.amdhsa_user_sgpr_private_segment_size 0
		.amdhsa_uses_dynamic_stack 0
		.amdhsa_system_sgpr_private_segment_wavefront_offset 1
		.amdhsa_system_sgpr_workgroup_id_x 1
		.amdhsa_system_sgpr_workgroup_id_y 0
		.amdhsa_system_sgpr_workgroup_id_z 0
		.amdhsa_system_sgpr_workgroup_info 0
		.amdhsa_system_vgpr_workitem_id 0
		.amdhsa_next_free_vgpr 256
		.amdhsa_next_free_sgpr 44
		.amdhsa_reserve_vcc 1
		.amdhsa_reserve_flat_scratch 0
		.amdhsa_float_round_mode_32 0
		.amdhsa_float_round_mode_16_64 0
		.amdhsa_float_denorm_mode_32 3
		.amdhsa_float_denorm_mode_16_64 3
		.amdhsa_dx10_clamp 1
		.amdhsa_ieee_mode 1
		.amdhsa_fp16_overflow 0
		.amdhsa_exception_fp_ieee_invalid_op 0
		.amdhsa_exception_fp_denorm_src 0
		.amdhsa_exception_fp_ieee_div_zero 0
		.amdhsa_exception_fp_ieee_overflow 0
		.amdhsa_exception_fp_ieee_underflow 0
		.amdhsa_exception_fp_ieee_inexact 0
		.amdhsa_exception_int_div_zero 0
	.end_amdhsa_kernel
	.text
.Lfunc_end0:
	.size	bluestein_single_back_len4050_dim1_dp_op_CI_CI, .Lfunc_end0-bluestein_single_back_len4050_dim1_dp_op_CI_CI
                                        ; -- End function
	.section	.AMDGPU.csdata,"",@progbits
; Kernel info:
; codeLenInByte = 53688
; NumSgprs: 48
; NumVgprs: 256
; ScratchSize: 1812
; MemoryBound: 0
; FloatMode: 240
; IeeeMode: 1
; LDSByteSize: 64800 bytes/workgroup (compile time only)
; SGPRBlocks: 5
; VGPRBlocks: 63
; NumSGPRsForWavesPerEU: 48
; NumVGPRsForWavesPerEU: 256
; Occupancy: 1
; WaveLimiterHint : 1
; COMPUTE_PGM_RSRC2:SCRATCH_EN: 1
; COMPUTE_PGM_RSRC2:USER_SGPR: 6
; COMPUTE_PGM_RSRC2:TRAP_HANDLER: 0
; COMPUTE_PGM_RSRC2:TGID_X_EN: 1
; COMPUTE_PGM_RSRC2:TGID_Y_EN: 0
; COMPUTE_PGM_RSRC2:TGID_Z_EN: 0
; COMPUTE_PGM_RSRC2:TIDIG_COMP_CNT: 0
	.type	__hip_cuid_e14efaaa0bdde13,@object ; @__hip_cuid_e14efaaa0bdde13
	.section	.bss,"aw",@nobits
	.globl	__hip_cuid_e14efaaa0bdde13
__hip_cuid_e14efaaa0bdde13:
	.byte	0                               ; 0x0
	.size	__hip_cuid_e14efaaa0bdde13, 1

	.ident	"AMD clang version 19.0.0git (https://github.com/RadeonOpenCompute/llvm-project roc-6.4.0 25133 c7fe45cf4b819c5991fe208aaa96edf142730f1d)"
	.section	".note.GNU-stack","",@progbits
	.addrsig
	.addrsig_sym __hip_cuid_e14efaaa0bdde13
	.amdgpu_metadata
---
amdhsa.kernels:
  - .args:
      - .actual_access:  read_only
        .address_space:  global
        .offset:         0
        .size:           8
        .value_kind:     global_buffer
      - .actual_access:  read_only
        .address_space:  global
        .offset:         8
        .size:           8
        .value_kind:     global_buffer
      - .actual_access:  read_only
        .address_space:  global
        .offset:         16
        .size:           8
        .value_kind:     global_buffer
      - .actual_access:  read_only
        .address_space:  global
        .offset:         24
        .size:           8
        .value_kind:     global_buffer
      - .actual_access:  read_only
        .address_space:  global
        .offset:         32
        .size:           8
        .value_kind:     global_buffer
      - .offset:         40
        .size:           8
        .value_kind:     by_value
      - .address_space:  global
        .offset:         48
        .size:           8
        .value_kind:     global_buffer
      - .address_space:  global
        .offset:         56
        .size:           8
        .value_kind:     global_buffer
      - .address_space:  global
        .offset:         64
        .size:           8
        .value_kind:     global_buffer
      - .address_space:  global
        .offset:         72
        .size:           8
        .value_kind:     global_buffer
      - .offset:         80
        .size:           4
        .value_kind:     by_value
      - .address_space:  global
        .offset:         88
        .size:           8
        .value_kind:     global_buffer
      - .address_space:  global
        .offset:         96
        .size:           8
        .value_kind:     global_buffer
    .group_segment_fixed_size: 64800
    .kernarg_segment_align: 8
    .kernarg_segment_size: 104
    .language:       OpenCL C
    .language_version:
      - 2
      - 0
    .max_flat_workgroup_size: 135
    .name:           bluestein_single_back_len4050_dim1_dp_op_CI_CI
    .private_segment_fixed_size: 1812
    .sgpr_count:     48
    .sgpr_spill_count: 0
    .symbol:         bluestein_single_back_len4050_dim1_dp_op_CI_CI.kd
    .uniform_work_group_size: 1
    .uses_dynamic_stack: false
    .vgpr_count:     256
    .vgpr_spill_count: 452
    .wavefront_size: 64
amdhsa.target:   amdgcn-amd-amdhsa--gfx906
amdhsa.version:
  - 1
  - 2
...

	.end_amdgpu_metadata
